;; amdgpu-corpus repo=ROCm/rocFFT kind=compiled arch=gfx1030 opt=O3
	.text
	.amdgcn_target "amdgcn-amd-amdhsa--gfx1030"
	.amdhsa_code_object_version 6
	.protected	bluestein_single_fwd_len756_dim1_dp_op_CI_CI ; -- Begin function bluestein_single_fwd_len756_dim1_dp_op_CI_CI
	.globl	bluestein_single_fwd_len756_dim1_dp_op_CI_CI
	.p2align	8
	.type	bluestein_single_fwd_len756_dim1_dp_op_CI_CI,@function
bluestein_single_fwd_len756_dim1_dp_op_CI_CI: ; @bluestein_single_fwd_len756_dim1_dp_op_CI_CI
; %bb.0:
	s_load_dwordx4 s[8:11], s[4:5], 0x28
	v_mul_u32_u24_e32 v1, 0x411, v0
	s_mov_b64 s[30:31], s[2:3]
	s_mov_b64 s[28:29], s[0:1]
	v_mov_b32_e32 v17, 0
	s_add_u32 s28, s28, s7
	v_lshrrev_b32_e32 v1, 16, v1
	s_addc_u32 s29, s29, 0
	s_mov_b32 s0, exec_lo
	v_add_nc_u32_e32 v16, s6, v1
	s_waitcnt lgkmcnt(0)
	v_cmpx_gt_u64_e64 s[8:9], v[16:17]
	s_cbranch_execz .LBB0_10
; %bb.1:
	s_clause 0x1
	s_load_dwordx4 s[0:3], s[4:5], 0x18
	s_load_dwordx4 s[12:15], s[4:5], 0x0
	v_mul_lo_u16 v1, v1, 63
                                        ; implicit-def: $vgpr212_vgpr213
                                        ; implicit-def: $vgpr216_vgpr217
	v_sub_nc_u16 v0, v0, v1
	v_and_b32_e32 v7, 0xffff, v0
	v_lshlrev_b32_e32 v6, 4, v7
	s_waitcnt lgkmcnt(0)
	s_load_dwordx4 s[16:19], s[0:1], 0x0
	s_clause 0x2
	global_load_dwordx4 v[32:35], v6, s[12:13]
	global_load_dwordx4 v[28:31], v6, s[12:13] offset:1008
	global_load_dwordx4 v[116:119], v6, s[12:13] offset:2016
	v_add_co_u32 v18, s0, s12, v6
	v_add_co_ci_u32_e64 v19, null, s13, 0, s0
	v_add_co_u32 v8, vcc_lo, 0x1000, v18
	v_add_co_ci_u32_e32 v9, vcc_lo, 0, v19, vcc_lo
	v_add_co_u32 v3, vcc_lo, 0x1800, v18
	v_add_co_ci_u32_e32 v4, vcc_lo, 0, v19, vcc_lo
	v_add_co_u32 v12, vcc_lo, 0x800, v18
	v_add_co_ci_u32_e32 v13, vcc_lo, 0, v19, vcc_lo
	s_waitcnt lgkmcnt(0)
	v_mad_u64_u32 v[10:11], null, s16, v7, 0
	v_mad_u64_u32 v[1:2], null, s18, v16, 0
	v_add_co_u32 v14, vcc_lo, 0x2000, v18
	v_add_co_ci_u32_e32 v15, vcc_lo, 0, v19, vcc_lo
	v_mov_b32_e32 v5, v11
	v_mov_b32_e32 v11, v16
	v_mad_u64_u32 v[16:17], null, s19, v16, v[2:3]
	v_add_co_u32 v17, vcc_lo, 0x2800, v18
	buffer_store_dword v11, off, s[28:31], 0 ; 4-byte Folded Spill
	buffer_store_dword v12, off, s[28:31], 0 offset:4 ; 4-byte Folded Spill
	v_add_co_ci_u32_e32 v18, vcc_lo, 0, v19, vcc_lo
	v_mad_u64_u32 v[19:20], null, s17, v7, v[5:6]
	v_mov_b32_e32 v2, v16
	s_clause 0x2
	global_load_dwordx4 v[44:47], v[8:9], off offset:1952
	global_load_dwordx4 v[40:43], v[3:4], off offset:912
	global_load_dwordx4 v[136:139], v[3:4], off offset:1920
	s_mul_i32 s0, s17, 0x17a0
	s_mul_hi_u32 s1, s16, 0x17a0
	s_mul_i32 s6, s16, 0x17a0
	v_lshlrev_b64 v[1:2], 4, v[1:2]
	v_mov_b32_e32 v11, v19
	s_add_i32 s1, s1, s0
	s_mul_hi_u32 s8, s16, 0xffffec50
	s_mul_i32 s7, s17, 0xffffec50
	s_mul_i32 s9, s16, 0xffffec50
	v_lshlrev_b64 v[3:4], 4, v[10:11]
	v_add_co_u32 v1, vcc_lo, s10, v1
	v_add_co_ci_u32_e32 v2, vcc_lo, s11, v2, vcc_lo
	s_sub_i32 s0, s8, s16
	v_add_co_u32 v1, vcc_lo, v1, v3
	v_add_co_ci_u32_e32 v2, vcc_lo, v2, v4, vcc_lo
	s_add_i32 s0, s0, s7
	v_add_co_u32 v10, vcc_lo, v1, s6
	v_add_co_ci_u32_e32 v11, vcc_lo, s1, v2, vcc_lo
	s_clause 0x3
	global_load_dwordx4 v[128:131], v[12:13], off offset:976
	global_load_dwordx4 v[120:123], v[12:13], off offset:1984
	global_load_dwordx4 v[132:135], v[14:15], off offset:880
	global_load_dwordx4 v[124:127], v[14:15], off offset:1888
	s_clause 0x1
	global_load_dwordx4 v[1:4], v[1:2], off
	global_load_dwordx4 v[48:51], v[10:11], off
	v_add_co_u32 v19, vcc_lo, v10, s9
	v_add_co_ci_u32_e32 v20, vcc_lo, s0, v11, vcc_lo
	v_add_co_u32 v12, vcc_lo, v19, s6
	v_add_co_ci_u32_e32 v13, vcc_lo, s1, v20, vcc_lo
	s_clause 0x1
	global_load_dwordx4 v[52:55], v[19:20], off
	global_load_dwordx4 v[56:59], v[12:13], off
	v_add_co_u32 v14, vcc_lo, v12, s9
	v_add_co_ci_u32_e32 v15, vcc_lo, s0, v13, vcc_lo
	v_add_co_u32 v10, vcc_lo, v14, s6
	v_add_co_ci_u32_e32 v11, vcc_lo, s1, v15, vcc_lo
	global_load_dwordx4 v[60:63], v[14:15], off
	v_add_co_u32 v12, vcc_lo, v10, s9
	v_add_co_ci_u32_e32 v13, vcc_lo, s0, v11, vcc_lo
	global_load_dwordx4 v[64:67], v[10:11], off
	;; [unrolled: 3-line block ×5, first 2 shown]
	v_add_co_u32 v14, vcc_lo, v12, s9
	v_add_co_ci_u32_e32 v15, vcc_lo, s0, v13, vcc_lo
	v_add_co_u32 v10, vcc_lo, v14, s6
	v_add_co_ci_u32_e32 v11, vcc_lo, s1, v15, vcc_lo
	global_load_dwordx4 v[80:83], v[12:13], off
	global_load_dwordx4 v[140:143], v[8:9], off offset:944
	global_load_dwordx4 v[84:87], v[14:15], off
	global_load_dwordx4 v[36:39], v[17:18], off offset:848
	global_load_dwordx4 v[88:91], v[10:11], off
	s_mov_b32 s0, 0xe8584caa
	s_mov_b32 s1, 0x3febb67a
	v_cmp_gt_u16_e32 vcc_lo, 36, v0
	s_waitcnt vmcnt(13)
	v_mul_f64 v[8:9], v[3:4], v[34:35]
	v_mul_f64 v[10:11], v[1:2], v[34:35]
	s_waitcnt vmcnt(12)
	v_mul_f64 v[12:13], v[50:51], v[46:47]
	v_mul_f64 v[14:15], v[48:49], v[46:47]
	;; [unrolled: 3-line block ×4, first 2 shown]
	v_fma_f64 v[1:2], v[1:2], v[32:33], v[8:9]
	buffer_store_dword v32, off, s[28:31], 0 offset:24 ; 4-byte Folded Spill
	buffer_store_dword v33, off, s[28:31], 0 offset:28 ; 4-byte Folded Spill
	buffer_store_dword v34, off, s[28:31], 0 offset:32 ; 4-byte Folded Spill
	buffer_store_dword v35, off, s[28:31], 0 offset:36 ; 4-byte Folded Spill
	s_waitcnt vmcnt(9)
	v_mul_f64 v[24:25], v[62:63], v[118:119]
	v_mul_f64 v[26:27], v[60:61], v[118:119]
	v_fma_f64 v[48:49], v[48:49], v[44:45], v[12:13]
	v_fma_f64 v[50:51], v[50:51], v[44:45], -v[14:15]
	s_waitcnt vmcnt(8)
	v_mul_f64 v[8:9], v[66:67], v[138:139]
	s_waitcnt vmcnt(7)
	v_mul_f64 v[92:93], v[70:71], v[130:131]
	v_fma_f64 v[52:53], v[52:53], v[28:29], v[16:17]
	buffer_store_dword v28, off, s[28:31], 0 offset:8 ; 4-byte Folded Spill
	buffer_store_dword v29, off, s[28:31], 0 offset:12 ; 4-byte Folded Spill
	;; [unrolled: 1-line block ×4, first 2 shown]
	v_mul_f64 v[94:95], v[68:69], v[130:131]
	v_fma_f64 v[56:57], v[56:57], v[40:41], v[20:21]
	s_waitcnt vmcnt(6)
	v_mul_f64 v[96:97], v[74:75], v[134:135]
	v_mul_f64 v[98:99], v[72:73], v[134:135]
	v_fma_f64 v[58:59], v[58:59], v[40:41], -v[22:23]
	s_waitcnt vmcnt(5)
	v_mul_f64 v[100:101], v[78:79], v[122:123]
	v_mul_f64 v[102:103], v[76:77], v[122:123]
	v_fma_f64 v[60:61], v[60:61], v[116:117], v[24:25]
	buffer_store_dword v116, off, s[28:31], 0 offset:40 ; 4-byte Folded Spill
	buffer_store_dword v117, off, s[28:31], 0 offset:44 ; 4-byte Folded Spill
	buffer_store_dword v118, off, s[28:31], 0 offset:48 ; 4-byte Folded Spill
	buffer_store_dword v119, off, s[28:31], 0 offset:52 ; 4-byte Folded Spill
	s_waitcnt vmcnt(4)
	v_mul_f64 v[104:105], v[82:83], v[126:127]
	v_mul_f64 v[106:107], v[80:81], v[126:127]
	s_waitcnt vmcnt(2)
	v_mul_f64 v[108:109], v[86:87], v[142:143]
	v_mul_f64 v[110:111], v[84:85], v[142:143]
	;; [unrolled: 3-line block ×3, first 2 shown]
	v_fma_f64 v[68:69], v[68:69], v[128:129], v[92:93]
	v_fma_f64 v[72:73], v[72:73], v[132:133], v[96:97]
	v_fma_f64 v[76:77], v[76:77], v[120:121], v[100:101]
	v_fma_f64 v[80:81], v[80:81], v[124:125], v[104:105]
	v_fma_f64 v[84:85], v[84:85], v[140:141], v[108:109]
	v_fma_f64 v[88:89], v[88:89], v[36:37], v[112:113]
	v_fma_f64 v[90:91], v[90:91], v[36:37], -v[114:115]
	v_fma_f64 v[3:4], v[3:4], v[32:33], -v[10:11]
	v_mul_f64 v[10:11], v[64:65], v[138:139]
	v_fma_f64 v[64:65], v[64:65], v[136:137], v[8:9]
	buffer_store_dword v136, off, s[28:31], 0 offset:120 ; 4-byte Folded Spill
	buffer_store_dword v137, off, s[28:31], 0 offset:124 ; 4-byte Folded Spill
	;; [unrolled: 1-line block ×24, first 2 shown]
	s_load_dwordx4 s[8:11], s[2:3], 0x0
	s_mov_b32 s3, 0xbfebb67a
	s_mov_b32 s2, s0
	v_fma_f64 v[54:55], v[54:55], v[28:29], -v[18:19]
	v_fma_f64 v[62:63], v[62:63], v[116:117], -v[26:27]
	;; [unrolled: 1-line block ×8, first 2 shown]
	v_lshlrev_b32_e32 v10, 5, v7
	ds_write_b128 v6, v[1:4]
	ds_write_b128 v6, v[48:51] offset:6048
	ds_write_b128 v6, v[52:55] offset:1008
	;; [unrolled: 1-line block ×11, first 2 shown]
	s_waitcnt lgkmcnt(0)
	s_waitcnt_vscnt null, 0x0
	s_barrier
	buffer_gl0_inv
	ds_read_b128 v[2:5], v6 offset:6048
	ds_read_b128 v[48:51], v6
	ds_read_b128 v[52:55], v6 offset:1008
	ds_read_b128 v[56:59], v6 offset:7056
	;; [unrolled: 1-line block ×10, first 2 shown]
	v_add_co_u32 v1, null, v7, 63
	s_waitcnt lgkmcnt(0)
	s_barrier
	buffer_gl0_inv
	v_lshlrev_b32_e32 v14, 5, v1
	v_and_b32_e32 v31, 1, v1
	v_add_f64 v[92:93], v[48:49], -v[2:3]
	v_add_f64 v[94:95], v[50:51], -v[4:5]
	;; [unrolled: 1-line block ×12, first 2 shown]
	v_lshlrev_b32_e32 v60, 1, v7
	v_add_nc_u32_e32 v5, 0x13b, v7
	v_add_co_u32 v3, null, 0x7e, v7
	v_add_co_u32 v2, null, 0xbd, v7
	v_and_b32_e32 v61, 1, v7
	v_add_nc_u32_e32 v28, 0x1f8, v60
	v_and_b32_e32 v29, 1, v5
	v_lshlrev_b32_e32 v13, 5, v3
	v_fma_f64 v[48:49], v[48:49], 2.0, -v[92:93]
	v_fma_f64 v[50:51], v[50:51], 2.0, -v[94:95]
	;; [unrolled: 1-line block ×12, first 2 shown]
	v_lshlrev_b32_e32 v11, 5, v2
	v_and_b32_e32 v30, 1, v2
	v_lshlrev_b32_e32 v4, 4, v60
	v_lshlrev_b32_e32 v12, 5, v5
	;; [unrolled: 1-line block ×5, first 2 shown]
	ds_write_b128 v10, v[92:95] offset:16
	ds_write_b128 v10, v[48:51]
	ds_write_b128 v14, v[52:55]
	buffer_store_dword v14, off, s[28:31], 0 offset:180 ; 4-byte Folded Spill
	ds_write_b128 v14, v[56:59] offset:16
	ds_write_b128 v13, v[62:65]
	buffer_store_dword v13, off, s[28:31], 0 offset:176 ; 4-byte Folded Spill
	ds_write_b128 v13, v[96:99] offset:16
	;; [unrolled: 3-line block ×3, first 2 shown]
	ds_write_b128 v4, v[80:83] offset:8064
	v_lshlrev_b32_e32 v4, 4, v30
	buffer_store_dword v15, off, s[28:31], 0 offset:184 ; 4-byte Folded Spill
	ds_write_b128 v15, v[76:79] offset:16
	ds_write_b128 v10, v[84:87] offset:10080
	buffer_store_dword v12, off, s[28:31], 0 offset:172 ; 4-byte Folded Spill
	ds_write_b128 v12, v[88:91] offset:16
	s_waitcnt lgkmcnt(0)
	s_waitcnt_vscnt null, 0x0
	s_barrier
	buffer_gl0_inv
	s_clause 0x3
	global_load_dwordx4 v[52:55], v8, s[14:15]
	global_load_dwordx4 v[48:51], v9, s[14:15]
	;; [unrolled: 1-line block ×3, first 2 shown]
	global_load_dwordx2 v[34:35], v9, s[14:15] offset:8
	v_lshlrev_b32_e32 v4, 4, v31
	v_lshlrev_b32_e32 v5, 1, v5
	global_load_dwordx2 v[32:33], v4, s[14:15]
	ds_read_b128 v[62:65], v6 offset:6048
	ds_read_b128 v[66:69], v6 offset:7056
	;; [unrolled: 1-line block ×6, first 2 shown]
	v_and_or_b32 v5, 0x2fc, v5, v29
	v_and_b32_e32 v4, 3, v7
	v_lshlrev_b32_e32 v5, 4, v5
	s_waitcnt vmcnt(3) lgkmcnt(4)
	v_mul_f64 v[12:13], v[68:69], v[50:51]
	v_mul_f64 v[8:9], v[64:65], v[54:55]
	s_waitcnt vmcnt(1) lgkmcnt(0)
	v_mul_f64 v[90:91], v[84:85], v[34:35]
	buffer_store_dword v34, off, s[28:31], 0 offset:160 ; 4-byte Folded Spill
	buffer_store_dword v35, off, s[28:31], 0 offset:164 ; 4-byte Folded Spill
	ds_read_b128 v[86:89], v6
	ds_read_b128 v[94:97], v6 offset:1008
	ds_read_b128 v[98:101], v6 offset:2016
	ds_read_b128 v[102:105], v6 offset:3024
	v_mul_f64 v[10:11], v[62:63], v[54:55]
	v_mul_f64 v[14:15], v[66:67], v[50:51]
	;; [unrolled: 1-line block ×8, first 2 shown]
	s_waitcnt vmcnt(0)
	v_fma_f64 v[12:13], v[66:67], v[32:33], -v[12:13]
	buffer_store_dword v32, off, s[28:31], 0 offset:152 ; 4-byte Folded Spill
	buffer_store_dword v33, off, s[28:31], 0 offset:156 ; 4-byte Folded Spill
	v_fma_f64 v[8:9], v[62:63], v[52:53], -v[8:9]
	v_fma_f64 v[90:91], v[82:83], v[48:49], -v[90:91]
	v_fma_f64 v[10:11], v[64:65], v[52:53], v[10:11]
	ds_read_b128 v[62:65], v6 offset:4032
	v_fma_f64 v[16:17], v[70:71], v[52:53], -v[16:17]
	v_fma_f64 v[18:19], v[72:73], v[52:53], v[18:19]
	v_fma_f64 v[20:21], v[74:75], v[56:57], -v[20:21]
	v_fma_f64 v[22:23], v[76:77], v[56:57], v[22:23]
	;; [unrolled: 2-line block ×3, first 2 shown]
	s_waitcnt lgkmcnt(3)
	v_add_f64 v[74:75], v[94:95], -v[12:13]
	v_and_or_b32 v12, 0x3fc, v28, v61
	v_add_f64 v[70:71], v[86:87], -v[8:9]
	v_lshlrev_b32_e32 v8, 1, v3
	v_lshlrev_b32_e32 v9, 1, v2
	v_add_f64 v[72:73], v[88:89], -v[10:11]
	v_lshlrev_b32_e32 v10, 5, v4
	s_waitcnt lgkmcnt(2)
	v_add_f64 v[78:79], v[98:99], -v[16:17]
	v_add_f64 v[80:81], v[100:101], -v[18:19]
	v_and_or_b32 v8, 0x1fc, v8, v61
	v_and_or_b32 v9, 0x1fc, v9, v30
	v_lshlrev_b32_e32 v9, 4, v9
	v_fma_f64 v[94:95], v[94:95], 2.0, -v[74:75]
	v_fma_f64 v[86:87], v[86:87], 2.0, -v[70:71]
	;; [unrolled: 1-line block ×5, first 2 shown]
	v_mul_f64 v[92:93], v[82:83], v[34:35]
	s_waitcnt lgkmcnt(1)
	v_add_f64 v[82:83], v[102:103], -v[20:21]
	v_fma_f64 v[14:15], v[68:69], v[32:33], v[14:15]
	ds_read_b128 v[66:69], v6 offset:5040
	v_fma_f64 v[92:93], v[84:85], v[48:49], v[92:93]
	v_add_f64 v[84:85], v[104:105], -v[22:23]
	s_waitcnt lgkmcnt(1)
	v_add_f64 v[106:107], v[62:63], -v[24:25]
	v_add_f64 v[108:109], v[64:65], -v[26:27]
	v_fma_f64 v[102:103], v[102:103], 2.0, -v[82:83]
	v_lshlrev_b32_e32 v32, 1, v1
	v_and_or_b32 v33, 0x7c, v60, v61
	s_waitcnt lgkmcnt(0)
	s_waitcnt_vscnt null, 0x0
	s_barrier
	buffer_gl0_inv
	v_and_or_b32 v11, 0xfc, v32, v31
	v_add_f64 v[110:111], v[66:67], -v[90:91]
	v_add_f64 v[76:77], v[96:97], -v[14:15]
	v_lshlrev_b32_e32 v14, 4, v33
	v_add_f64 v[112:113], v[68:69], -v[92:93]
	v_fma_f64 v[104:105], v[104:105], 2.0, -v[84:85]
	v_fma_f64 v[62:63], v[62:63], 2.0, -v[106:107]
	;; [unrolled: 1-line block ×3, first 2 shown]
	v_lshlrev_b32_e32 v15, 4, v11
	v_and_b32_e32 v92, 3, v1
	v_and_b32_e32 v93, 3, v3
	v_lshlrev_b32_e32 v11, 4, v8
	v_lshlrev_b32_e32 v8, 4, v12
	ds_write_b128 v14, v[70:73] offset:32
	buffer_store_dword v14, off, s[28:31], 0 offset:204 ; 4-byte Folded Spill
	v_lshlrev_b32_e32 v13, 5, v92
	v_fma_f64 v[66:67], v[66:67], 2.0, -v[110:111]
	v_fma_f64 v[96:97], v[96:97], 2.0, -v[76:77]
	ds_write_b128 v14, v[86:89]
	ds_write_b128 v15, v[94:97]
	v_fma_f64 v[68:69], v[68:69], 2.0, -v[112:113]
	v_and_b32_e32 v97, 3, v2
	buffer_store_dword v15, off, s[28:31], 0 offset:208 ; 4-byte Folded Spill
	ds_write_b128 v15, v[74:77] offset:32
	ds_write_b128 v11, v[98:101]
	buffer_store_dword v11, off, s[28:31], 0 offset:200 ; 4-byte Folded Spill
	ds_write_b128 v11, v[78:81] offset:32
	ds_write_b128 v9, v[102:105]
	;; [unrolled: 3-line block ×4, first 2 shown]
	buffer_store_dword v5, off, s[28:31], 0 offset:188 ; 4-byte Folded Spill
	ds_write_b128 v5, v[110:113] offset:32
	v_lshlrev_b32_e32 v5, 5, v93
	v_lshlrev_b32_e32 v8, 5, v97
	s_waitcnt lgkmcnt(0)
	s_waitcnt_vscnt null, 0x0
	s_barrier
	buffer_gl0_inv
	s_clause 0x7
	global_load_dwordx4 v[76:79], v10, s[14:15] offset:32
	global_load_dwordx4 v[88:91], v10, s[14:15] offset:48
	;; [unrolled: 1-line block ×8, first 2 shown]
	ds_read_b128 v[99:102], v6 offset:4032
	ds_read_b128 v[107:110], v6 offset:5040
	;; [unrolled: 1-line block ×8, first 2 shown]
	v_lshrrev_b32_e32 v8, 2, v7
	v_lshrrev_b32_e32 v9, 2, v1
	;; [unrolled: 1-line block ×4, first 2 shown]
	v_and_b32_e32 v5, 0xff, v0
	v_mul_u32_u24_e32 v8, 12, v8
	v_and_b32_e32 v94, 0xff, v3
	v_mul_u32_u24_e32 v28, 12, v10
	v_mul_u32_u24_e32 v29, 12, v11
	v_mul_lo_u16 v5, 0xab, v5
	v_or_b32_e32 v4, v8, v4
	v_mul_u32_u24_e32 v8, 12, v9
	v_or_b32_e32 v28, v28, v93
	v_and_b32_e32 v98, 0xff, v2
	v_lshrrev_b16 v95, 11, v5
	v_and_b32_e32 v5, 0xff, v1
	v_or_b32_e32 v34, v8, v92
	v_mul_lo_u16 v32, 0xab, v94
	v_mul_lo_u16 v33, 0xab, v98
	;; [unrolled: 1-line block ×4, first 2 shown]
	v_or_b32_e32 v29, v29, v97
	v_lshrrev_b16 v97, 11, v32
	v_lshlrev_b32_e32 v35, 4, v4
	v_sub_nc_u16 v4, v0, v30
	v_lshrrev_b16 v96, 11, v31
	v_lshlrev_b32_e32 v32, 4, v28
	v_mul_lo_u16 v28, v97, 12
	v_mul_lo_u16 v5, v5, 57
	v_and_b32_e32 v4, 0xff, v4
	v_mul_lo_u16 v30, v96, 12
	v_sub_nc_u16 v30, v1, v30
	s_waitcnt vmcnt(7) lgkmcnt(7)
	v_mul_f64 v[8:9], v[101:102], v[78:79]
	v_mul_f64 v[10:11], v[99:100], v[78:79]
	s_waitcnt vmcnt(6) lgkmcnt(5)
	v_mul_f64 v[12:13], v[105:106], v[90:91]
	v_mul_f64 v[14:15], v[103:104], v[90:91]
	s_waitcnt vmcnt(5)
	v_mul_f64 v[16:17], v[109:110], v[86:87]
	v_mul_f64 v[18:19], v[107:108], v[86:87]
	s_waitcnt vmcnt(4) lgkmcnt(4)
	v_mul_f64 v[20:21], v[113:114], v[82:83]
	v_mul_f64 v[22:23], v[111:112], v[82:83]
	s_waitcnt vmcnt(3) lgkmcnt(3)
	;; [unrolled: 3-line block ×3, first 2 shown]
	v_mul_f64 v[131:132], v[121:122], v[66:67]
	v_mul_f64 v[133:134], v[119:120], v[66:67]
	s_waitcnt vmcnt(1)
	v_mul_f64 v[135:136], v[125:126], v[70:71]
	s_waitcnt vmcnt(0) lgkmcnt(0)
	v_mul_f64 v[137:138], v[129:130], v[62:63]
	v_mul_f64 v[139:140], v[123:124], v[70:71]
	;; [unrolled: 1-line block ×3, first 2 shown]
	v_fma_f64 v[8:9], v[99:100], v[76:77], -v[8:9]
	v_fma_f64 v[10:11], v[101:102], v[76:77], v[10:11]
	v_fma_f64 v[12:13], v[103:104], v[88:89], -v[12:13]
	v_fma_f64 v[14:15], v[105:106], v[88:89], v[14:15]
	;; [unrolled: 2-line block ×6, first 2 shown]
	v_fma_f64 v[119:120], v[123:124], v[68:69], -v[135:136]
	v_fma_f64 v[121:122], v[127:128], v[60:61], -v[137:138]
	v_fma_f64 v[123:124], v[125:126], v[68:69], v[139:140]
	v_fma_f64 v[125:126], v[129:130], v[60:61], v[141:142]
	ds_read_b128 v[101:104], v6
	ds_read_b128 v[105:108], v6 offset:1008
	ds_read_b128 v[109:112], v6 offset:2016
	;; [unrolled: 1-line block ×3, first 2 shown]
	v_lshrrev_b16 v100, 11, v33
	v_and_b32_e32 v99, 0xff, v30
	v_lshlrev_b32_e32 v33, 4, v34
	s_waitcnt lgkmcnt(0)
	s_barrier
	v_add_f64 v[127:128], v[8:9], v[12:13]
	v_add_f64 v[129:130], v[10:11], v[14:15]
	v_mul_lo_u16 v31, v100, 12
	buffer_gl0_inv
	v_add_f64 v[131:132], v[16:17], v[20:21]
	v_add_f64 v[133:134], v[18:19], v[22:23]
	v_mul_lo_u16 v30, v98, 57
	v_add_f64 v[135:136], v[24:25], v[92:93]
	v_add_f64 v[139:140], v[26:27], v[117:118]
	;; [unrolled: 1-line block ×6, first 2 shown]
	v_add_f64 v[10:11], v[10:11], -v[14:15]
	v_add_f64 v[8:9], v[8:9], -v[12:13]
	v_add_f64 v[153:154], v[111:112], v[26:27]
	v_add_f64 v[155:156], v[113:114], v[119:120]
	;; [unrolled: 1-line block ×5, first 2 shown]
	v_fma_f64 v[127:128], v[127:128], -0.5, v[101:102]
	v_fma_f64 v[129:130], v[129:130], -0.5, v[103:104]
	v_add_f64 v[157:158], v[115:116], v[123:124]
	v_add_f64 v[18:19], v[18:19], -v[22:23]
	v_add_f64 v[16:17], v[16:17], -v[20:21]
	v_fma_f64 v[131:132], v[131:132], -0.5, v[105:106]
	v_add_f64 v[26:27], v[26:27], -v[117:118]
	v_fma_f64 v[133:134], v[133:134], -0.5, v[107:108]
	;; [unrolled: 2-line block ×5, first 2 shown]
	v_add_f64 v[104:105], v[137:138], v[14:15]
	v_fma_f64 v[14:15], v[145:146], -0.5, v[115:116]
	v_add_f64 v[102:103], v[141:142], v[12:13]
	v_add_f64 v[112:113], v[153:154], v[117:118]
	;; [unrolled: 1-line block ×6, first 2 shown]
	v_fma_f64 v[118:119], v[10:11], s[0:1], v[127:128]
	v_fma_f64 v[120:121], v[8:9], s[2:3], v[129:130]
	v_add_f64 v[116:117], v[157:158], v[125:126]
	v_fma_f64 v[122:123], v[10:11], s[2:3], v[127:128]
	v_fma_f64 v[124:125], v[8:9], s[0:1], v[129:130]
	;; [unrolled: 1-line block ×14, first 2 shown]
	v_sub_nc_u16 v8, v3, v28
	v_sub_nc_u16 v10, v2, v31
	v_lshlrev_b32_e32 v11, 4, v29
	v_lshlrev_b32_e32 v9, 5, v4
	ds_write_b128 v35, v[102:105]
	ds_write_b128 v35, v[118:121] offset:64
	v_and_b32_e32 v101, 0xff, v8
	v_lshlrev_b32_e32 v8, 5, v99
	v_and_b32_e32 v102, 0xff, v10
	buffer_store_dword v35, off, s[28:31], 0 offset:232 ; 4-byte Folded Spill
	ds_write_b128 v35, v[122:125] offset:128
	ds_write_b128 v33, v[106:109]
	ds_write_b128 v33, v[126:129] offset:64
	buffer_store_dword v33, off, s[28:31], 0 offset:236 ; 4-byte Folded Spill
	ds_write_b128 v33, v[130:133] offset:128
	ds_write_b128 v32, v[110:113]
	ds_write_b128 v32, v[134:137] offset:64
	;; [unrolled: 4-line block ×3, first 2 shown]
	buffer_store_dword v11, off, s[28:31], 0 offset:240 ; 4-byte Folded Spill
	ds_write_b128 v11, v[146:149] offset:128
	s_waitcnt lgkmcnt(0)
	s_waitcnt_vscnt null, 0x0
	s_barrier
	buffer_gl0_inv
	s_clause 0x1
	global_load_dwordx4 v[152:155], v9, s[14:15] offset:160
	global_load_dwordx4 v[144:147], v9, s[14:15] offset:176
	v_lshlrev_b32_e32 v9, 5, v101
	s_clause 0x1
	global_load_dwordx4 v[140:143], v8, s[14:15] offset:160
	global_load_dwordx4 v[136:139], v8, s[14:15] offset:176
	v_lshlrev_b32_e32 v8, 5, v102
	s_clause 0x3
	global_load_dwordx4 v[128:131], v9, s[14:15] offset:160
	global_load_dwordx4 v[120:123], v9, s[14:15] offset:176
	;; [unrolled: 1-line block ×4, first 2 shown]
	ds_read_b128 v[103:106], v6 offset:4032
	ds_read_b128 v[111:114], v6 offset:5040
	;; [unrolled: 1-line block ×8, first 2 shown]
	v_add_co_u32 v8, s6, 0xffffffdc, v7
	v_add_co_ci_u32_e64 v9, null, 0, -1, s6
	v_mul_lo_u16 v10, v95, 36
	v_cndmask_b32_e32 v92, v8, v7, vcc_lo
	v_mul_lo_u16 v29, v94, 57
	v_cndmask_b32_e64 v93, v9, 0, vcc_lo
	v_mov_b32_e32 v28, 36
	v_and_b32_e32 v31, 0xfc, v10
	v_lshrrev_b16 v32, 11, v5
	v_lshrrev_b16 v29, 11, v29
	v_lshlrev_b64 v[8:9], 5, v[92:93]
	v_mul_u32_u24_sdwa v5, v96, v28 dst_sel:DWORD dst_unused:UNUSED_PAD src0_sel:WORD_0 src1_sel:DWORD
	v_mul_u32_u24_sdwa v33, v97, v28 dst_sel:DWORD dst_unused:UNUSED_PAD src0_sel:WORD_0 src1_sel:DWORD
	v_mul_lo_u16 v34, v32, 36
	v_mul_lo_u16 v35, v29, 36
	v_mul_u32_u24_sdwa v28, v100, v28 dst_sel:DWORD dst_unused:UNUSED_PAD src0_sel:WORD_0 src1_sel:DWORD
	v_add_lshl_u32 v224, v31, v4, 4
	v_add_co_u32 v8, vcc_lo, s14, v8
	v_sub_nc_u16 v34, v1, v34
	v_sub_nc_u16 v3, v3, v35
	v_add_lshl_u32 v255, v5, v99, 4
	v_add_lshl_u32 v5, v33, v101, 4
	;; [unrolled: 1-line block ×3, first 2 shown]
	v_and_b32_e32 v31, 0xff, v34
	v_and_b32_e32 v34, 0xff, v3
	v_add_co_ci_u32_e32 v9, vcc_lo, s15, v9, vcc_lo
	v_lshrrev_b16 v30, 11, v30
	v_lshlrev_b32_e32 v3, 5, v31
	v_cmp_lt_u16_e32 vcc_lo, 35, v0
	v_mul_lo_u16 v100, v30, 36
	v_sub_nc_u16 v2, v2, v100
	v_and_b32_e32 v28, 0xff, v2
	v_lshlrev_b32_e32 v2, 5, v28
	s_waitcnt vmcnt(7) lgkmcnt(7)
	v_mul_f64 v[12:13], v[103:104], v[154:155]
	s_waitcnt vmcnt(6) lgkmcnt(5)
	v_mul_f64 v[16:17], v[107:108], v[146:147]
	s_waitcnt vmcnt(5)
	v_mul_f64 v[18:19], v[113:114], v[142:143]
	v_mul_f64 v[20:21], v[111:112], v[142:143]
	s_waitcnt vmcnt(4) lgkmcnt(4)
	v_mul_f64 v[22:23], v[134:135], v[138:139]
	v_mul_f64 v[24:25], v[132:133], v[138:139]
	s_waitcnt vmcnt(3) lgkmcnt(3)
	;; [unrolled: 3-line block ×3, first 2 shown]
	v_mul_f64 v[168:169], v[158:159], v[122:123]
	v_mul_f64 v[170:171], v[156:157], v[122:123]
	s_waitcnt vmcnt(1)
	v_mul_f64 v[172:173], v[162:163], v[126:127]
	s_waitcnt vmcnt(0) lgkmcnt(0)
	v_mul_f64 v[174:175], v[166:167], v[118:119]
	v_mul_f64 v[176:177], v[160:161], v[126:127]
	;; [unrolled: 1-line block ×5, first 2 shown]
	v_fma_f64 v[12:13], v[105:106], v[152:153], v[12:13]
	v_fma_f64 v[16:17], v[109:110], v[144:145], v[16:17]
	v_fma_f64 v[18:19], v[111:112], v[140:141], -v[18:19]
	v_fma_f64 v[20:21], v[113:114], v[140:141], v[20:21]
	v_fma_f64 v[22:23], v[132:133], v[136:137], -v[22:23]
	;; [unrolled: 2-line block ×5, first 2 shown]
	v_fma_f64 v[156:157], v[164:165], v[116:117], -v[174:175]
	v_fma_f64 v[158:159], v[162:163], v[124:125], v[176:177]
	v_fma_f64 v[160:161], v[166:167], v[116:117], v[178:179]
	v_fma_f64 v[10:11], v[103:104], v[152:153], -v[10:11]
	v_fma_f64 v[14:15], v[107:108], v[144:145], -v[14:15]
	ds_read_b128 v[103:106], v6
	ds_read_b128 v[93:96], v6 offset:1008
	ds_read_b128 v[107:110], v6 offset:2016
	;; [unrolled: 1-line block ×3, first 2 shown]
	s_waitcnt lgkmcnt(0)
	s_barrier
	buffer_gl0_inv
	v_add_f64 v[162:163], v[12:13], v[16:17]
	v_add_f64 v[164:165], v[18:19], v[22:23]
	v_add_f64 v[166:167], v[20:21], v[24:25]
	v_add_f64 v[168:169], v[26:27], v[134:135]
	v_add_f64 v[172:173], v[132:133], v[148:149]
	v_add_f64 v[192:193], v[132:133], -v[148:149]
	v_add_f64 v[176:177], v[150:151], v[156:157]
	v_add_f64 v[196:197], v[150:151], -v[156:157]
	v_add_f64 v[178:179], v[158:159], v[160:161]
	v_add_f64 v[170:171], v[105:106], v[12:13]
	;; [unrolled: 1-line block ×4, first 2 shown]
	v_add_f64 v[12:13], v[12:13], -v[16:17]
	v_add_f64 v[10:11], v[10:11], -v[14:15]
	v_add_f64 v[180:181], v[95:96], v[20:21]
	v_add_f64 v[182:183], v[93:94], v[18:19]
	;; [unrolled: 1-line block ×5, first 2 shown]
	v_add_f64 v[20:21], v[20:21], -v[24:25]
	v_fma_f64 v[162:163], v[162:163], -0.5, v[105:106]
	v_add_f64 v[18:19], v[18:19], -v[22:23]
	v_fma_f64 v[164:165], v[164:165], -0.5, v[93:94]
	v_fma_f64 v[166:167], v[166:167], -0.5, v[95:96]
	v_add_f64 v[26:27], v[26:27], -v[134:135]
	v_fma_f64 v[168:169], v[168:169], -0.5, v[107:108]
	v_add_f64 v[194:195], v[158:159], -v[160:161]
	v_fma_f64 v[172:173], v[172:173], -0.5, v[109:110]
	v_fma_f64 v[176:177], v[176:177], -0.5, v[111:112]
	v_add_f64 v[184:185], v[109:110], v[132:133]
	v_add_f64 v[95:96], v[170:171], v[16:17]
	v_fma_f64 v[16:17], v[178:179], -0.5, v[113:114]
	v_fma_f64 v[97:98], v[97:98], -0.5, v[103:104]
	v_add_f64 v[93:94], v[174:175], v[14:15]
	v_add_f64 v[105:106], v[180:181], v[24:25]
	;; [unrolled: 1-line block ×6, first 2 shown]
	v_fma_f64 v[134:135], v[10:11], s[2:3], v[162:163]
	v_fma_f64 v[150:151], v[10:11], s[0:1], v[162:163]
	;; [unrolled: 1-line block ×14, first 2 shown]
	v_add_f64 v[109:110], v[184:185], v[148:149]
	v_fma_f64 v[148:149], v[12:13], s[2:3], v[97:98]
	v_fma_f64 v[174:175], v[196:197], s[2:3], v[16:17]
	ds_write_b128 v224, v[93:96]
	ds_write_b128 v224, v[132:135] offset:192
	ds_write_b128 v224, v[148:151] offset:384
	ds_write_b128 v255, v[103:106]
	ds_write_b128 v255, v[156:159] offset:192
	ds_write_b128 v255, v[160:163] offset:384
	ds_write_b128 v5, v[107:110]
	ds_write_b128 v5, v[164:167] offset:192
	buffer_store_dword v5, off, s[28:31], 0 offset:248 ; 4-byte Folded Spill
	ds_write_b128 v5, v[168:171] offset:384
	ds_write_b128 v4, v[111:114]
	ds_write_b128 v4, v[172:175] offset:192
	buffer_store_dword v4, off, s[28:31], 0 offset:244 ; 4-byte Folded Spill
	ds_write_b128 v4, v[176:179] offset:384
	v_lshlrev_b32_e32 v4, 5, v34
	s_waitcnt lgkmcnt(0)
	s_waitcnt_vscnt null, 0x0
	s_barrier
	buffer_gl0_inv
	s_clause 0x7
	global_load_dwordx4 v[200:203], v[8:9], off offset:544
	global_load_dwordx4 v[196:199], v[8:9], off offset:560
	global_load_dwordx4 v[192:195], v3, s[14:15] offset:544
	global_load_dwordx4 v[180:183], v3, s[14:15] offset:560
	;; [unrolled: 1-line block ×6, first 2 shown]
	ds_read_b128 v[2:5], v6 offset:4032
	ds_read_b128 v[93:96], v6 offset:8064
	;; [unrolled: 1-line block ×8, first 2 shown]
	s_waitcnt vmcnt(7) lgkmcnt(7)
	v_mul_f64 v[8:9], v[4:5], v[202:203]
	s_waitcnt vmcnt(4) lgkmcnt(4)
	v_mul_f64 v[20:21], v[103:104], v[182:183]
	v_mul_f64 v[16:17], v[99:100], v[194:195]
	;; [unrolled: 1-line block ×5, first 2 shown]
	s_waitcnt vmcnt(3) lgkmcnt(3)
	v_mul_f64 v[24:25], v[107:108], v[178:179]
	v_mul_f64 v[113:114], v[105:106], v[178:179]
	s_waitcnt vmcnt(2) lgkmcnt(2)
	v_mul_f64 v[164:165], v[109:110], v[174:175]
	v_mul_f64 v[22:23], v[101:102], v[182:183]
	;; [unrolled: 1-line block ×3, first 2 shown]
	s_waitcnt vmcnt(1) lgkmcnt(1)
	v_mul_f64 v[166:167], v[158:159], v[150:151]
	v_mul_f64 v[18:19], v[97:98], v[194:195]
	v_fma_f64 v[8:9], v[2:3], v[200:201], -v[8:9]
	v_fma_f64 v[20:21], v[101:102], v[180:181], -v[20:21]
	;; [unrolled: 1-line block ×4, first 2 shown]
	v_fma_f64 v[12:13], v[4:5], v[200:201], v[12:13]
	v_fma_f64 v[14:15], v[95:96], v[196:197], v[14:15]
	v_fma_f64 v[24:25], v[105:106], v[176:177], -v[24:25]
	s_waitcnt vmcnt(0) lgkmcnt(0)
	v_mul_f64 v[101:102], v[162:163], v[134:135]
	v_fma_f64 v[105:106], v[107:108], v[176:177], v[113:114]
	v_fma_f64 v[111:112], v[111:112], v[172:173], v[164:165]
	v_mul_f64 v[97:98], v[156:157], v[150:151]
	ds_read_b128 v[2:5], v6
	ds_read_b128 v[93:96], v6 offset:1008
	v_fma_f64 v[22:23], v[103:104], v[180:181], v[22:23]
	v_fma_f64 v[26:27], v[109:110], v[172:173], -v[26:27]
	v_mul_f64 v[103:104], v[160:161], v[134:135]
	v_fma_f64 v[156:157], v[156:157], v[148:149], -v[166:167]
	v_fma_f64 v[18:19], v[99:100], v[192:193], v[18:19]
	v_add_f64 v[113:114], v[16:17], v[20:21]
	v_add_f64 v[107:108], v[8:9], v[10:11]
	v_add_f64 v[109:110], v[12:13], v[14:15]
	v_fma_f64 v[160:161], v[160:161], v[132:133], -v[101:102]
	s_waitcnt lgkmcnt(0)
	v_add_f64 v[170:171], v[93:94], v[16:17]
	v_fma_f64 v[158:159], v[158:159], v[148:149], v[97:98]
	ds_read_b128 v[97:100], v6 offset:2016
	v_add_f64 v[166:167], v[24:25], v[26:27]
	v_fma_f64 v[101:102], v[162:163], v[132:133], v[103:104]
	v_add_f64 v[103:104], v[4:5], v[12:13]
	v_add_f64 v[162:163], v[2:3], v[8:9]
	;; [unrolled: 1-line block ×4, first 2 shown]
	v_add_f64 v[12:13], v[12:13], -v[14:15]
	v_add_f64 v[8:9], v[8:9], -v[10:11]
	v_fma_f64 v[113:114], v[113:114], -0.5, v[93:94]
	v_add_f64 v[93:94], v[105:106], v[111:112]
	v_fma_f64 v[107:108], v[107:108], -0.5, v[2:3]
	v_fma_f64 v[109:110], v[109:110], -0.5, v[4:5]
	ds_read_b128 v[2:5], v6 offset:3024
	s_waitcnt lgkmcnt(0)
	s_barrier
	buffer_gl0_inv
	v_fma_f64 v[188:189], v[166:167], -0.5, v[97:98]
	v_add_f64 v[97:98], v[97:98], v[24:25]
	v_fma_f64 v[186:187], v[164:165], -0.5, v[95:96]
	v_add_f64 v[95:96], v[168:169], v[22:23]
	;; [unrolled: 2-line block ×3, first 2 shown]
	v_add_f64 v[99:100], v[99:100], v[105:106]
	v_add_f64 v[164:165], v[4:5], v[158:159]
	;; [unrolled: 1-line block ×3, first 2 shown]
	v_fma_f64 v[208:209], v[93:94], -0.5, v[2:3]
	v_add_f64 v[93:94], v[158:159], v[101:102]
	v_add_f64 v[2:3], v[162:163], v[10:11]
	v_add_f64 v[10:11], v[18:19], -v[22:23]
	v_add_f64 v[18:19], v[24:25], -v[26:27]
	;; [unrolled: 1-line block ×3, first 2 shown]
	v_add_f64 v[156:157], v[97:98], v[26:27]
	v_fma_f64 v[162:163], v[8:9], s[2:3], v[109:110]
	v_mov_b32_e32 v24, 0x6c
	v_cndmask_b32_e64 v25, 0, 0x6c, vcc_lo
	v_cmp_gt_u16_e32 vcc_lo, 45, v0
	v_mul_u32_u24_sdwa v32, v32, v24 dst_sel:DWORD dst_unused:UNUSED_PAD src0_sel:WORD_0 src1_sel:DWORD
	v_fma_f64 v[210:211], v[93:94], -0.5, v[4:5]
	v_add_f64 v[4:5], v[103:104], v[14:15]
	v_add_f64 v[93:94], v[170:171], v[20:21]
	v_add_f64 v[14:15], v[16:17], -v[20:21]
	v_add_f64 v[16:17], v[105:106], -v[111:112]
	v_add_f64 v[20:21], v[158:159], -v[101:102]
	v_add_f64 v[158:159], v[99:100], v[111:112]
	v_add_f64 v[102:103], v[164:165], v[101:102]
	;; [unrolled: 1-line block ×3, first 2 shown]
	v_fma_f64 v[160:161], v[12:13], s[0:1], v[107:108]
	v_fma_f64 v[164:165], v[12:13], s[2:3], v[107:108]
	;; [unrolled: 1-line block ×7, first 2 shown]
	v_mul_u32_u24_sdwa v8, v29, v24 dst_sel:DWORD dst_unused:UNUSED_PAD src0_sel:WORD_0 src1_sel:DWORD
	v_mul_u32_u24_sdwa v9, v30, v24 dst_sel:DWORD dst_unused:UNUSED_PAD src0_sel:WORD_0 src1_sel:DWORD
	v_add_lshl_u32 v12, v92, v25, 4
	v_add_lshl_u32 v11, v32, v31, 4
	ds_write_b128 v12, v[2:5]
	ds_write_b128 v12, v[160:163] offset:576
	v_fma_f64 v[170:171], v[14:15], s[2:3], v[186:187]
	v_fma_f64 v[186:187], v[14:15], s[0:1], v[186:187]
	v_fma_f64 v[104:105], v[16:17], s[2:3], v[188:189]
	v_fma_f64 v[112:113], v[20:21], s[2:3], v[208:209]
	v_fma_f64 v[114:115], v[22:23], s[0:1], v[210:211]
	v_fma_f64 v[204:205], v[16:17], s[0:1], v[188:189]
	v_fma_f64 v[108:109], v[20:21], s[0:1], v[208:209]
	v_fma_f64 v[110:111], v[22:23], s[2:3], v[210:211]
	v_add_lshl_u32 v10, v8, v34, 4
	v_add_lshl_u32 v8, v9, v28, 4
	buffer_store_dword v12, off, s[28:31], 0 offset:224 ; 4-byte Folded Spill
	ds_write_b128 v12, v[164:167] offset:1152
	ds_write_b128 v11, v[93:96]
	ds_write_b128 v11, v[168:171] offset:576
	buffer_store_dword v11, off, s[28:31], 0 offset:220 ; 4-byte Folded Spill
	ds_write_b128 v11, v[184:187] offset:1152
	ds_write_b128 v10, v[156:159]
	ds_write_b128 v10, v[204:207] offset:576
	;; [unrolled: 4-line block ×3, first 2 shown]
	buffer_store_dword v8, off, s[28:31], 0 offset:212 ; 4-byte Folded Spill
	ds_write_b128 v8, v[112:115] offset:1152
	s_waitcnt lgkmcnt(0)
	s_waitcnt_vscnt null, 0x0
	s_barrier
	buffer_gl0_inv
	ds_read_b128 v[208:211], v6
	ds_read_b128 v[168:171], v6 offset:1728
	ds_read_b128 v[164:167], v6 offset:3456
	;; [unrolled: 1-line block ×6, first 2 shown]
	s_load_dwordx2 s[2:3], s[4:5], 0x38
	s_and_saveexec_b32 s0, vcc_lo
	s_cbranch_execz .LBB0_3
; %bb.2:
	ds_read_b128 v[204:207], v6 offset:1008
	ds_read_b128 v[104:107], v6 offset:2736
	;; [unrolled: 1-line block ×7, first 2 shown]
.LBB0_3:
	s_or_b32 exec_lo, exec_lo, s0
	v_mad_u64_u32 v[2:3], null, 0x60, v7, s[14:15]
	v_subrev_nc_u32_e32 v0, 45, v7
	s_mov_b32 s6, 0xe976ee23
	s_mov_b32 s7, 0xbfe11646
	;; [unrolled: 1-line block ×4, first 2 shown]
	v_cndmask_b32_e32 v0, v0, v1, vcc_lo
	s_clause 0x1
	global_load_dwordx4 v[156:159], v[2:3], off offset:1696
	global_load_dwordx4 v[160:163], v[2:3], off offset:1712
	s_mov_b32 s17, 0xbff2aaaa
	s_mov_b32 s5, 0x3fe77f67
	;; [unrolled: 1-line block ×3, first 2 shown]
	v_mul_i32_i24_e32 v1, 0x60, v0
	v_mul_hi_i32_i24_e32 v28, 0x60, v0
	s_mov_b32 s19, 0x3fdc38aa
	s_mov_b32 s22, 0x37e14327
	;; [unrolled: 1-line block ×3, first 2 shown]
	v_add_co_u32 v0, s0, s14, v1
	v_add_co_ci_u32_e64 v1, s0, s15, v28, s0
	s_mov_b32 s0, 0x36b3c0b5
	s_mov_b32 s1, 0x3fac98ee
	;; [unrolled: 1-line block ×10, first 2 shown]
	s_waitcnt vmcnt(1) lgkmcnt(0)
	v_mul_f64 v[4:5], v[170:171], v[158:159]
	v_mul_f64 v[8:9], v[168:169], v[158:159]
	s_waitcnt vmcnt(0)
	v_mul_f64 v[10:11], v[166:167], v[162:163]
	v_mul_f64 v[12:13], v[164:165], v[162:163]
	v_fma_f64 v[4:5], v[168:169], v[156:157], -v[4:5]
	v_fma_f64 v[8:9], v[170:171], v[156:157], v[8:9]
	v_fma_f64 v[10:11], v[164:165], v[160:161], -v[10:11]
	v_fma_f64 v[12:13], v[166:167], v[160:161], v[12:13]
	s_clause 0x1
	global_load_dwordx4 v[164:167], v[2:3], off offset:1728
	global_load_dwordx4 v[168:171], v[2:3], off offset:1744
	s_waitcnt vmcnt(1)
	v_mul_f64 v[14:15], v[190:191], v[166:167]
	v_mul_f64 v[16:17], v[188:189], v[166:167]
	s_waitcnt vmcnt(0)
	v_mul_f64 v[18:19], v[186:187], v[170:171]
	v_mul_f64 v[20:21], v[184:185], v[170:171]
	v_fma_f64 v[14:15], v[188:189], v[164:165], -v[14:15]
	v_fma_f64 v[16:17], v[190:191], v[164:165], v[16:17]
	v_fma_f64 v[18:19], v[184:185], v[168:169], -v[18:19]
	v_fma_f64 v[20:21], v[186:187], v[168:169], v[20:21]
	s_clause 0x1
	global_load_dwordx4 v[184:187], v[2:3], off offset:1760
	global_load_dwordx4 v[188:191], v[2:3], off offset:1776
	v_add_f64 v[251:252], v[16:17], v[20:21]
	s_waitcnt vmcnt(1)
	v_mul_f64 v[2:3], v[98:99], v[186:187]
	v_mul_f64 v[22:23], v[96:97], v[186:187]
	s_waitcnt vmcnt(0)
	v_mul_f64 v[24:25], v[94:95], v[190:191]
	v_mul_f64 v[26:27], v[92:93], v[190:191]
	v_fma_f64 v[2:3], v[96:97], v[184:185], -v[2:3]
	v_fma_f64 v[22:23], v[98:99], v[184:185], v[22:23]
	v_fma_f64 v[24:25], v[92:93], v[188:189], -v[24:25]
	v_fma_f64 v[26:27], v[94:95], v[188:189], v[26:27]
	s_clause 0x1
	global_load_dwordx4 v[92:95], v[0:1], off offset:1696
	global_load_dwordx4 v[96:99], v[0:1], off offset:1712
	v_add_f64 v[222:223], v[12:13], v[22:23]
	v_add_f64 v[12:13], v[12:13], -v[22:23]
	v_add_f64 v[22:23], v[251:252], -v[222:223]
	s_waitcnt vmcnt(1)
	v_mul_f64 v[220:221], v[106:107], v[94:95]
	v_fma_f64 v[225:226], v[104:105], v[92:93], -v[220:221]
	v_mul_f64 v[104:105], v[104:105], v[94:95]
	v_fma_f64 v[227:228], v[106:107], v[92:93], v[104:105]
	s_waitcnt vmcnt(0)
	v_mul_f64 v[104:105], v[102:103], v[98:99]
	v_fma_f64 v[231:232], v[100:101], v[96:97], -v[104:105]
	v_mul_f64 v[100:101], v[100:101], v[98:99]
	v_fma_f64 v[229:230], v[102:103], v[96:97], v[100:101]
	s_clause 0x1
	global_load_dwordx4 v[100:103], v[0:1], off offset:1728
	global_load_dwordx4 v[104:107], v[0:1], off offset:1744
	s_waitcnt vmcnt(1)
	v_mul_f64 v[220:221], v[110:111], v[102:103]
	v_fma_f64 v[235:236], v[108:109], v[100:101], -v[220:221]
	v_mul_f64 v[108:109], v[108:109], v[102:103]
	v_add_f64 v[220:221], v[8:9], v[26:27]
	v_add_f64 v[8:9], v[8:9], -v[26:27]
	v_fma_f64 v[233:234], v[110:111], v[100:101], v[108:109]
	s_waitcnt vmcnt(0)
	v_mul_f64 v[108:109], v[114:115], v[106:107]
	v_add_f64 v[247:248], v[222:223], v[220:221]
	v_fma_f64 v[239:240], v[112:113], v[104:105], -v[108:109]
	v_mul_f64 v[108:109], v[112:113], v[106:107]
	v_add_f64 v[247:248], v[251:252], v[247:248]
	v_fma_f64 v[237:238], v[114:115], v[104:105], v[108:109]
	s_clause 0x1
	global_load_dwordx4 v[108:111], v[0:1], off offset:1760
	global_load_dwordx4 v[112:115], v[0:1], off offset:1776
	v_add_f64 v[210:211], v[210:211], v[247:248]
	v_fma_f64 v[32:33], v[247:248], s[16:17], v[210:211]
	s_waitcnt vmcnt(1)
	v_mul_f64 v[0:1], v[214:215], v[110:111]
	v_fma_f64 v[243:244], v[212:213], v[108:109], -v[0:1]
	v_mul_f64 v[0:1], v[212:213], v[110:111]
	v_add_f64 v[212:213], v[4:5], v[24:25]
	v_add_f64 v[4:5], v[4:5], -v[24:25]
	v_fma_f64 v[241:242], v[214:215], v[108:109], v[0:1]
	s_waitcnt vmcnt(0)
	v_mul_f64 v[0:1], v[218:219], v[114:115]
	v_add_f64 v[214:215], v[14:15], v[18:19]
	v_fma_f64 v[245:246], v[216:217], v[112:113], -v[0:1]
	v_mul_f64 v[0:1], v[216:217], v[114:115]
	v_fma_f64 v[216:217], v[218:219], v[112:113], v[0:1]
	v_add_f64 v[0:1], v[10:11], v[2:3]
	v_add_f64 v[2:3], v[10:11], -v[2:3]
	v_add_f64 v[10:11], v[18:19], -v[14:15]
	;; [unrolled: 1-line block ×4, first 2 shown]
	v_add_f64 v[218:219], v[0:1], v[212:213]
	v_add_f64 v[16:17], v[0:1], -v[212:213]
	v_add_f64 v[18:19], v[214:215], -v[0:1]
	v_add_f64 v[0:1], v[10:11], v[2:3]
	v_add_f64 v[24:25], v[10:11], -v[2:3]
	v_add_f64 v[26:27], v[2:3], -v[4:5]
	;; [unrolled: 3-line block ×3, first 2 shown]
	v_add_f64 v[14:15], v[8:9], -v[14:15]
	v_add_f64 v[218:219], v[214:215], v[218:219]
	v_add_f64 v[28:29], v[0:1], v[4:5]
	v_mul_f64 v[24:25], v[24:25], s[6:7]
	v_mul_f64 v[0:1], v[18:19], s[0:1]
	v_add_f64 v[30:31], v[2:3], v[8:9]
	v_mul_f64 v[222:223], v[222:223], s[6:7]
	v_mul_f64 v[2:3], v[22:23], s[0:1]
	v_add_f64 v[4:5], v[4:5], -v[10:11]
	v_mul_f64 v[8:9], v[26:27], s[14:15]
	v_mul_f64 v[10:11], v[12:13], s[14:15]
	v_add_f64 v[208:209], v[208:209], v[218:219]
	v_fma_f64 v[34:35], v[26:27], s[14:15], -v[24:25]
	v_fma_f64 v[0:1], v[16:17], s[4:5], -v[0:1]
	v_fma_f64 v[247:248], v[12:13], s[14:15], -v[222:223]
	v_fma_f64 v[2:3], v[20:21], s[4:5], -v[2:3]
	v_fma_f64 v[8:9], v[4:5], s[26:27], -v[8:9]
	v_fma_f64 v[10:11], v[14:15], s[26:27], -v[10:11]
	v_fma_f64 v[4:5], v[4:5], s[24:25], v[24:25]
	v_fma_f64 v[14:15], v[14:15], s[24:25], v[222:223]
	v_add_f64 v[24:25], v[229:230], v[241:242]
	v_fma_f64 v[218:219], v[218:219], s[16:17], v[208:209]
	v_fma_f64 v[34:35], v[28:29], s[18:19], v[34:35]
	;; [unrolled: 1-line block ×3, first 2 shown]
	v_add_f64 v[253:254], v[2:3], v[32:33]
	v_fma_f64 v[4:5], v[28:29], s[18:19], v[4:5]
	v_fma_f64 v[14:15], v[30:31], s[18:19], v[14:15]
	v_add_f64 v[249:250], v[0:1], v[218:219]
	v_add_f64 v[2:3], v[34:35], v[253:254]
	v_add_f64 v[0:1], v[249:250], -v[247:248]
	v_add_f64 v[247:248], v[247:248], v[249:250]
	v_add_f64 v[249:250], v[253:254], -v[34:35]
	v_add_f64 v[34:35], v[212:213], -v[214:215]
	;; [unrolled: 1-line block ×3, first 2 shown]
	v_mul_f64 v[12:13], v[34:35], s[22:23]
	v_mul_f64 v[26:27], v[212:213], s[22:23]
	v_fma_f64 v[34:35], v[28:29], s[18:19], v[8:9]
	v_fma_f64 v[8:9], v[30:31], s[18:19], v[10:11]
	v_fma_f64 v[16:17], v[16:17], s[20:21], -v[12:13]
	v_fma_f64 v[20:21], v[20:21], s[20:21], -v[26:27]
	v_fma_f64 v[12:13], v[18:19], s[0:1], v[12:13]
	v_add_f64 v[18:19], v[235:236], v[239:240]
	v_add_f64 v[10:11], v[16:17], v[218:219]
	;; [unrolled: 1-line block ×5, first 2 shown]
	v_add_f64 v[253:254], v[16:17], -v[34:35]
	v_add_f64 v[8:9], v[10:11], -v[8:9]
	v_add_f64 v[10:11], v[34:35], v[16:17]
	v_fma_f64 v[16:17], v[22:23], s[0:1], v[26:27]
	v_add_f64 v[218:219], v[14:15], v[12:13]
	v_add_f64 v[12:13], v[12:13], -v[14:15]
	v_add_f64 v[22:23], v[227:228], v[216:217]
	v_add_f64 v[26:27], v[233:234], v[237:238]
	;; [unrolled: 1-line block ×4, first 2 shown]
	v_add_f64 v[220:221], v[16:17], -v[4:5]
	v_add_f64 v[14:15], v[4:5], v[16:17]
	v_add_f64 v[4:5], v[225:226], v[245:246]
	;; [unrolled: 1-line block ×3, first 2 shown]
	ds_write_b128 v6, v[208:211]
	ds_write_b128 v6, v[218:221] offset:1728
	ds_write_b128 v6, v[251:254] offset:3456
	;; [unrolled: 1-line block ×6, first 2 shown]
	v_add_f64 v[0:1], v[231:232], -v[243:244]
	v_add_f64 v[2:3], v[239:240], -v[235:236]
	;; [unrolled: 1-line block ×3, first 2 shown]
	v_add_f64 v[20:21], v[16:17], v[4:5]
	v_add_f64 v[10:11], v[227:228], -v[216:217]
	v_add_f64 v[12:13], v[229:230], -v[241:242]
	;; [unrolled: 1-line block ×5, first 2 shown]
	v_add_f64 v[28:29], v[26:27], v[28:29]
	v_add_f64 v[229:230], v[18:19], -v[16:17]
	v_add_f64 v[16:17], v[22:23], -v[26:27]
	;; [unrolled: 1-line block ×4, first 2 shown]
	v_add_f64 v[4:5], v[2:3], v[0:1]
	v_add_f64 v[20:21], v[18:19], v[20:21]
	v_add_f64 v[18:19], v[2:3], -v[0:1]
	v_add_f64 v[2:3], v[8:9], -v[2:3]
	;; [unrolled: 1-line block ×3, first 2 shown]
	v_add_f64 v[214:215], v[206:207], v[28:29]
	v_add_f64 v[249:250], v[4:5], v[8:9]
	;; [unrolled: 1-line block ×3, first 2 shown]
	v_add_f64 v[8:9], v[14:15], -v[12:13]
	v_add_f64 v[12:13], v[12:13], -v[10:11]
	v_add_f64 v[212:213], v[204:205], v[20:21]
	v_add_f64 v[14:15], v[10:11], -v[14:15]
	v_mul_f64 v[253:254], v[18:19], s[6:7]
	v_mul_f64 v[0:1], v[0:1], s[14:15]
	v_add_f64 v[4:5], v[4:5], v[10:11]
	v_mul_f64 v[10:11], v[30:31], s[22:23]
	v_mul_f64 v[239:240], v[8:9], s[6:7]
	;; [unrolled: 1-line block ×4, first 2 shown]
	v_fma_f64 v[16:17], v[2:3], s[24:25], v[253:254]
	v_fma_f64 v[18:19], v[2:3], s[26:27], -v[0:1]
	v_fma_f64 v[251:252], v[20:21], s[16:17], v[212:213]
	v_fma_f64 v[2:3], v[28:29], s[16:17], v[214:215]
	;; [unrolled: 1-line block ×3, first 2 shown]
	v_fma_f64 v[10:11], v[225:226], s[20:21], -v[10:11]
	v_fma_f64 v[22:23], v[14:15], s[24:25], v[239:240]
	v_fma_f64 v[14:15], v[14:15], s[26:27], -v[243:244]
	v_fma_f64 v[20:21], v[237:238], s[20:21], -v[8:9]
	v_fma_f64 v[8:9], v[247:248], s[0:1], v[8:9]
	v_fma_f64 v[218:219], v[249:250], s[18:19], v[16:17]
	v_fma_f64 v[241:242], v[249:250], s[18:19], v[18:19]
	v_add_f64 v[227:228], v[12:13], v[251:252]
	v_add_f64 v[235:236], v[10:11], v[251:252]
	v_fma_f64 v[216:217], v[4:5], s[18:19], v[22:23]
	v_fma_f64 v[231:232], v[4:5], s[18:19], v[14:15]
	v_add_f64 v[245:246], v[20:21], v[2:3]
	v_add_f64 v[233:234], v[8:9], v[2:3]
	v_add_f64 v[208:209], v[227:228], -v[216:217]
	v_add_f64 v[204:205], v[235:236], -v[231:232]
	v_add_f64 v[206:207], v[241:242], v[245:246]
	v_add_f64 v[210:211], v[218:219], v[233:234]
	s_and_saveexec_b32 s6, vcc_lo
	s_cbranch_execz .LBB0_5
; %bb.4:
	v_mul_f64 v[8:9], v[247:248], s[0:1]
	v_mul_f64 v[10:11], v[237:238], s[4:5]
	;; [unrolled: 1-line block ×6, first 2 shown]
	v_add_f64 v[0:1], v[0:1], -v[253:254]
	v_add_f64 v[8:9], v[10:11], -v[8:9]
	;; [unrolled: 1-line block ×4, first 2 shown]
	v_add_f64 v[16:17], v[16:17], v[0:1]
	v_add_f64 v[0:1], v[231:232], v[235:236]
	;; [unrolled: 1-line block ×5, first 2 shown]
	v_add_f64 v[10:11], v[233:234], -v[218:219]
	v_add_f64 v[8:9], v[216:217], v[227:228]
	v_add_f64 v[2:3], v[245:246], -v[241:242]
	v_add_f64 v[218:219], v[16:17], v[18:19]
	v_add_f64 v[14:15], v[18:19], -v[16:17]
	v_add_f64 v[216:217], v[12:13], -v[4:5]
	v_add_f64 v[12:13], v[4:5], v[12:13]
	ds_write_b128 v6, v[212:215] offset:1008
	ds_write_b128 v6, v[204:207] offset:9648
	;; [unrolled: 1-line block ×7, first 2 shown]
.LBB0_5:
	s_or_b32 exec_lo, exec_lo, s6
	v_lshlrev_b32_e32 v0, 4, v7
	s_waitcnt lgkmcnt(0)
	s_barrier
	buffer_gl0_inv
	s_mov_b32 s5, 0x3febb67a
	v_add_co_u32 v0, s0, s12, v0
	v_add_co_ci_u32_e64 v1, null, s13, 0, s0
	v_add_co_u32 v2, s0, 0x2800, v0
	v_add_co_ci_u32_e64 v3, s0, 0, v1, s0
	v_add_co_u32 v16, s0, 0x4000, v0
	v_add_co_ci_u32_e64 v17, s0, 0, v1, s0
	global_load_dwordx4 v[2:5], v[2:3], off offset:1856
	ds_read_b128 v[8:11], v6
	ds_read_b128 v[12:15], v6 offset:1008
	global_load_dwordx4 v[212:215], v[16:17], off offset:752
	s_waitcnt vmcnt(1) lgkmcnt(1)
	v_mul_f64 v[18:19], v[10:11], v[4:5]
	v_mul_f64 v[4:5], v[8:9], v[4:5]
	v_fma_f64 v[8:9], v[8:9], v[2:3], -v[18:19]
	v_fma_f64 v[10:11], v[10:11], v[2:3], v[4:5]
	global_load_dwordx4 v[2:5], v[16:17], off offset:1760
	ds_read_b128 v[216:219], v6 offset:6048
	ds_read_b128 v[225:228], v6 offset:7056
	v_add_co_u32 v18, s0, 0x4800, v0
	v_add_co_ci_u32_e64 v19, s0, 0, v1, s0
	global_load_dwordx4 v[229:232], v[18:19], off offset:720
	s_waitcnt vmcnt(1) lgkmcnt(1)
	v_mul_f64 v[16:17], v[218:219], v[4:5]
	v_mul_f64 v[4:5], v[216:217], v[4:5]
	v_fma_f64 v[216:217], v[216:217], v[2:3], -v[16:17]
	v_add_co_u32 v16, s0, 0x2f40, v0
	v_add_co_ci_u32_e64 v17, s0, 0, v1, s0
	v_fma_f64 v[218:219], v[218:219], v[2:3], v[4:5]
	s_clause 0x1
	global_load_dwordx4 v[2:5], v[16:17], off offset:1008
	global_load_dwordx4 v[233:236], v[16:17], off offset:2016
	s_waitcnt vmcnt(1)
	v_mul_f64 v[16:17], v[14:15], v[4:5]
	v_mul_f64 v[4:5], v[12:13], v[4:5]
	v_fma_f64 v[12:13], v[12:13], v[2:3], -v[16:17]
	v_fma_f64 v[14:15], v[14:15], v[2:3], v[4:5]
	s_waitcnt lgkmcnt(0)
	v_mul_f64 v[2:3], v[227:228], v[231:232]
	v_mul_f64 v[4:5], v[225:226], v[231:232]
	v_fma_f64 v[2:3], v[225:226], v[229:230], -v[2:3]
	v_fma_f64 v[4:5], v[227:228], v[229:230], v[4:5]
	ds_read_b128 v[225:228], v6 offset:2016
	ds_read_b128 v[229:232], v6 offset:3024
	s_waitcnt vmcnt(0) lgkmcnt(1)
	v_mul_f64 v[16:17], v[227:228], v[235:236]
	v_mul_f64 v[20:21], v[225:226], v[235:236]
	v_fma_f64 v[225:226], v[225:226], v[233:234], -v[16:17]
	v_add_co_u32 v16, s0, 0x3800, v0
	v_add_co_ci_u32_e64 v17, s0, 0, v1, s0
	v_fma_f64 v[227:228], v[227:228], v[233:234], v[20:21]
	s_clause 0x1
	global_load_dwordx4 v[233:236], v[18:19], off offset:1728
	global_load_dwordx4 v[237:240], v[16:17], off offset:784
	ds_read_b128 v[241:244], v6 offset:8064
	ds_read_b128 v[245:248], v6 offset:9072
	s_waitcnt vmcnt(1) lgkmcnt(1)
	v_mul_f64 v[18:19], v[243:244], v[235:236]
	v_mul_f64 v[20:21], v[241:242], v[235:236]
	v_fma_f64 v[241:242], v[241:242], v[233:234], -v[18:19]
	s_waitcnt vmcnt(0)
	v_mul_f64 v[18:19], v[231:232], v[239:240]
	v_fma_f64 v[243:244], v[243:244], v[233:234], v[20:21]
	v_mul_f64 v[20:21], v[229:230], v[239:240]
	v_fma_f64 v[229:230], v[229:230], v[237:238], -v[18:19]
	v_add_co_u32 v18, s0, 0x5000, v0
	v_add_co_ci_u32_e64 v19, s0, 0, v1, s0
	v_fma_f64 v[231:232], v[231:232], v[237:238], v[20:21]
	s_clause 0x1
	global_load_dwordx4 v[233:236], v[16:17], off offset:1792
	global_load_dwordx4 v[237:240], v[18:19], off offset:688
	v_add_co_u32 v0, s0, 0x5800, v0
	v_add_co_ci_u32_e64 v1, s0, 0, v1, s0
	s_mov_b32 s0, 0xe8584caa
	s_mov_b32 s1, 0xbfebb67a
	;; [unrolled: 1-line block ×3, first 2 shown]
	s_waitcnt vmcnt(0) lgkmcnt(0)
	v_mul_f64 v[16:17], v[247:248], v[239:240]
	v_mul_f64 v[20:21], v[245:246], v[239:240]
	v_fma_f64 v[245:246], v[245:246], v[237:238], -v[16:17]
	v_fma_f64 v[247:248], v[247:248], v[237:238], v[20:21]
	ds_read_b128 v[237:240], v6 offset:4032
	ds_read_b128 v[249:252], v6 offset:5040
	s_waitcnt lgkmcnt(1)
	v_mul_f64 v[16:17], v[239:240], v[235:236]
	v_mul_f64 v[20:21], v[237:238], v[235:236]
	v_fma_f64 v[235:236], v[237:238], v[233:234], -v[16:17]
	s_clause 0x1
	global_load_dwordx4 v[220:223], v[18:19], off offset:1696
	global_load_dwordx4 v[16:19], v[0:1], off offset:656
	v_fma_f64 v[237:238], v[239:240], v[233:234], v[20:21]
	ds_read_b128 v[20:23], v6 offset:10080
	ds_read_b128 v[24:27], v6 offset:11088
	s_waitcnt vmcnt(1) lgkmcnt(1)
	v_mul_f64 v[0:1], v[22:23], v[222:223]
	v_mul_f64 v[28:29], v[20:21], v[222:223]
	v_fma_f64 v[20:21], v[20:21], v[220:221], -v[0:1]
	v_mul_f64 v[0:1], v[251:252], v[214:215]
	v_fma_f64 v[22:23], v[22:23], v[220:221], v[28:29]
	v_mul_f64 v[28:29], v[249:250], v[214:215]
	v_fma_f64 v[220:221], v[249:250], v[212:213], -v[0:1]
	s_waitcnt vmcnt(0) lgkmcnt(0)
	v_mul_f64 v[0:1], v[26:27], v[18:19]
	v_mul_f64 v[18:19], v[24:25], v[18:19]
	v_fma_f64 v[222:223], v[251:252], v[212:213], v[28:29]
	v_fma_f64 v[24:25], v[24:25], v[16:17], -v[0:1]
	v_fma_f64 v[26:27], v[26:27], v[16:17], v[18:19]
	ds_write_b128 v6, v[8:11]
	ds_write_b128 v6, v[216:219] offset:6048
	ds_write_b128 v6, v[12:15] offset:1008
	;; [unrolled: 1-line block ×11, first 2 shown]
	s_waitcnt lgkmcnt(0)
	s_barrier
	buffer_gl0_inv
	ds_read_b128 v[0:3], v6 offset:6048
	ds_read_b128 v[8:11], v6
	ds_read_b128 v[12:15], v6 offset:1008
	ds_read_b128 v[16:19], v6 offset:7056
	v_lshlrev_b32_e32 v4, 5, v7
	ds_read_b128 v[20:23], v6 offset:2016
	ds_read_b128 v[24:27], v6 offset:3024
	;; [unrolled: 1-line block ×8, first 2 shown]
	s_waitcnt lgkmcnt(0)
	s_barrier
	buffer_gl0_inv
	v_add_f64 v[0:1], v[8:9], -v[0:1]
	v_add_f64 v[2:3], v[10:11], -v[2:3]
	v_fma_f64 v[8:9], v[8:9], 2.0, -v[0:1]
	v_fma_f64 v[10:11], v[10:11], 2.0, -v[2:3]
	ds_write_b128 v4, v[0:3] offset:16
	ds_write_b128 v4, v[8:11]
	buffer_load_dword v4, off, s[28:31], 0 offset:180 ; 4-byte Folded Reload
	v_add_f64 v[0:1], v[12:13], -v[16:17]
	v_add_f64 v[2:3], v[14:15], -v[18:19]
	v_fma_f64 v[8:9], v[12:13], 2.0, -v[0:1]
	v_fma_f64 v[10:11], v[14:15], 2.0, -v[2:3]
	s_waitcnt vmcnt(0)
	ds_write_b128 v4, v[8:11]
	ds_write_b128 v4, v[0:3] offset:16
	buffer_load_dword v4, off, s[28:31], 0 offset:176 ; 4-byte Folded Reload
	v_add_f64 v[0:1], v[20:21], -v[212:213]
	v_add_f64 v[2:3], v[22:23], -v[214:215]
	v_fma_f64 v[8:9], v[20:21], 2.0, -v[0:1]
	v_fma_f64 v[10:11], v[22:23], 2.0, -v[2:3]
	s_waitcnt vmcnt(0)
	ds_write_b128 v4, v[8:11]
	ds_write_b128 v4, v[0:3] offset:16
	;; [unrolled: 8-line block ×5, first 2 shown]
	s_waitcnt lgkmcnt(0)
	s_barrier
	buffer_gl0_inv
	ds_read_b128 v[0:3], v6 offset:9072
	ds_read_b128 v[8:11], v6 offset:8064
	s_waitcnt lgkmcnt(1)
	v_mul_f64 v[4:5], v[58:59], v[2:3]
	v_fma_f64 v[4:5], v[56:57], v[0:1], v[4:5]
	v_mul_f64 v[0:1], v[58:59], v[0:1]
	v_fma_f64 v[28:29], v[56:57], v[2:3], -v[0:1]
	ds_read_b128 v[0:3], v6 offset:6048
	ds_read_b128 v[12:15], v6 offset:7056
	s_waitcnt lgkmcnt(1)
	v_mul_f64 v[16:17], v[54:55], v[2:3]
	v_fma_f64 v[16:17], v[52:53], v[0:1], v[16:17]
	v_mul_f64 v[0:1], v[54:55], v[0:1]
	v_fma_f64 v[18:19], v[52:53], v[2:3], -v[0:1]
	v_mul_f64 v[0:1], v[54:55], v[10:11]
	v_fma_f64 v[30:31], v[52:53], v[8:9], v[0:1]
	v_mul_f64 v[0:1], v[54:55], v[8:9]
	v_fma_f64 v[32:33], v[52:53], v[10:11], -v[0:1]
	ds_read_b128 v[0:3], v6 offset:10080
	ds_read_b128 v[8:11], v6 offset:11088
	s_waitcnt lgkmcnt(1)
	v_mul_f64 v[20:21], v[54:55], v[2:3]
	v_fma_f64 v[34:35], v[52:53], v[0:1], v[20:21]
	v_mul_f64 v[0:1], v[54:55], v[0:1]
	v_fma_f64 v[52:53], v[52:53], v[2:3], -v[0:1]
	s_clause 0x1
	buffer_load_dword v2, off, s[28:31], 0 offset:160
	buffer_load_dword v3, off, s[28:31], 0 offset:164
	s_waitcnt vmcnt(0) lgkmcnt(0)
	v_mul_f64 v[0:1], v[2:3], v[10:11]
	v_mul_f64 v[2:3], v[2:3], v[8:9]
	v_fma_f64 v[54:55], v[48:49], v[8:9], v[0:1]
	s_clause 0x1
	buffer_load_dword v8, off, s[28:31], 0 offset:152
	buffer_load_dword v9, off, s[28:31], 0 offset:156
	v_fma_f64 v[56:57], v[48:49], v[10:11], -v[2:3]
	v_mul_f64 v[0:1], v[50:51], v[14:15]
	v_mul_f64 v[2:3], v[50:51], v[12:13]
	s_waitcnt vmcnt(0)
	v_fma_f64 v[58:59], v[8:9], v[12:13], v[0:1]
	v_fma_f64 v[212:213], v[8:9], v[14:15], -v[2:3]
	ds_read_b128 v[0:3], v6
	ds_read_b128 v[8:11], v6 offset:1008
	s_waitcnt lgkmcnt(1)
	v_add_f64 v[12:13], v[0:1], -v[16:17]
	v_add_f64 v[14:15], v[2:3], -v[18:19]
	ds_read_b128 v[16:19], v6 offset:2016
	ds_read_b128 v[20:23], v6 offset:3024
	;; [unrolled: 1-line block ×4, first 2 shown]
	s_waitcnt lgkmcnt(0)
	s_barrier
	buffer_gl0_inv
	buffer_load_dword v214, off, s[28:31], 0 offset:204 ; 4-byte Folded Reload
	v_fma_f64 v[0:1], v[0:1], 2.0, -v[12:13]
	v_fma_f64 v[2:3], v[2:3], 2.0, -v[14:15]
	s_waitcnt vmcnt(0)
	ds_write_b128 v214, v[12:15] offset:32
	ds_write_b128 v214, v[0:3]
	buffer_load_dword v12, off, s[28:31], 0 offset:208 ; 4-byte Folded Reload
	v_add_f64 v[0:1], v[8:9], -v[58:59]
	v_add_f64 v[2:3], v[10:11], -v[212:213]
	v_fma_f64 v[8:9], v[8:9], 2.0, -v[0:1]
	v_fma_f64 v[10:11], v[10:11], 2.0, -v[2:3]
	s_waitcnt vmcnt(0)
	ds_write_b128 v12, v[8:11]
	ds_write_b128 v12, v[0:3] offset:32
	buffer_load_dword v12, off, s[28:31], 0 offset:200 ; 4-byte Folded Reload
	v_add_f64 v[0:1], v[16:17], -v[30:31]
	v_add_f64 v[2:3], v[18:19], -v[32:33]
	v_fma_f64 v[8:9], v[16:17], 2.0, -v[0:1]
	v_fma_f64 v[10:11], v[18:19], 2.0, -v[2:3]
	s_waitcnt vmcnt(0)
	ds_write_b128 v12, v[8:11]
	ds_write_b128 v12, v[0:3] offset:32
	v_add_f64 v[0:1], v[20:21], -v[4:5]
	buffer_load_dword v4, off, s[28:31], 0 offset:196 ; 4-byte Folded Reload
	v_add_f64 v[2:3], v[22:23], -v[28:29]
	v_fma_f64 v[8:9], v[20:21], 2.0, -v[0:1]
	v_fma_f64 v[10:11], v[22:23], 2.0, -v[2:3]
	s_waitcnt vmcnt(0)
	ds_write_b128 v4, v[8:11]
	ds_write_b128 v4, v[0:3] offset:32
	buffer_load_dword v4, off, s[28:31], 0 offset:192 ; 4-byte Folded Reload
	v_add_f64 v[0:1], v[24:25], -v[34:35]
	v_add_f64 v[2:3], v[26:27], -v[52:53]
	v_fma_f64 v[8:9], v[24:25], 2.0, -v[0:1]
	v_fma_f64 v[10:11], v[26:27], 2.0, -v[2:3]
	s_waitcnt vmcnt(0)
	ds_write_b128 v4, v[8:11]
	ds_write_b128 v4, v[0:3] offset:32
	buffer_load_dword v4, off, s[28:31], 0 offset:188 ; 4-byte Folded Reload
	v_add_f64 v[0:1], v[48:49], -v[54:55]
	v_add_f64 v[2:3], v[50:51], -v[56:57]
	v_fma_f64 v[8:9], v[48:49], 2.0, -v[0:1]
	v_fma_f64 v[10:11], v[50:51], 2.0, -v[2:3]
	s_waitcnt vmcnt(0)
	ds_write_b128 v4, v[8:11]
	ds_write_b128 v4, v[0:3] offset:32
	s_waitcnt lgkmcnt(0)
	s_barrier
	buffer_gl0_inv
	ds_read_b128 v[0:3], v6 offset:4032
	ds_read_b128 v[8:11], v6 offset:5040
	s_waitcnt lgkmcnt(1)
	v_mul_f64 v[4:5], v[78:79], v[2:3]
	v_fma_f64 v[4:5], v[76:77], v[0:1], v[4:5]
	v_mul_f64 v[0:1], v[78:79], v[0:1]
	v_fma_f64 v[16:17], v[76:77], v[2:3], -v[0:1]
	ds_read_b128 v[0:3], v6 offset:8064
	ds_read_b128 v[12:15], v6 offset:9072
	s_waitcnt lgkmcnt(1)
	v_mul_f64 v[18:19], v[90:91], v[2:3]
	v_fma_f64 v[18:19], v[88:89], v[0:1], v[18:19]
	v_mul_f64 v[0:1], v[90:91], v[0:1]
	v_fma_f64 v[20:21], v[88:89], v[2:3], -v[0:1]
	v_mul_f64 v[0:1], v[86:87], v[10:11]
	v_fma_f64 v[28:29], v[84:85], v[8:9], v[0:1]
	v_mul_f64 v[0:1], v[86:87], v[8:9]
	v_fma_f64 v[30:31], v[84:85], v[10:11], -v[0:1]
	s_waitcnt lgkmcnt(0)
	v_mul_f64 v[0:1], v[82:83], v[14:15]
	v_fma_f64 v[32:33], v[80:81], v[12:13], v[0:1]
	v_mul_f64 v[0:1], v[82:83], v[12:13]
	v_fma_f64 v[34:35], v[80:81], v[14:15], -v[0:1]
	ds_read_b128 v[0:3], v6 offset:6048
	ds_read_b128 v[8:11], v6 offset:7056
	s_waitcnt lgkmcnt(1)
	v_mul_f64 v[12:13], v[74:75], v[2:3]
	v_fma_f64 v[48:49], v[72:73], v[0:1], v[12:13]
	v_mul_f64 v[0:1], v[74:75], v[0:1]
	v_fma_f64 v[50:51], v[72:73], v[2:3], -v[0:1]
	ds_read_b128 v[0:3], v6 offset:10080
	ds_read_b128 v[12:15], v6 offset:11088
	s_waitcnt lgkmcnt(1)
	v_mul_f64 v[22:23], v[66:67], v[2:3]
	v_fma_f64 v[52:53], v[64:65], v[0:1], v[22:23]
	v_mul_f64 v[0:1], v[66:67], v[0:1]
	v_fma_f64 v[54:55], v[64:65], v[2:3], -v[0:1]
	v_mul_f64 v[0:1], v[70:71], v[10:11]
	v_fma_f64 v[56:57], v[68:69], v[8:9], v[0:1]
	v_mul_f64 v[0:1], v[70:71], v[8:9]
	v_fma_f64 v[58:59], v[68:69], v[10:11], -v[0:1]
	s_waitcnt lgkmcnt(0)
	v_mul_f64 v[0:1], v[62:63], v[14:15]
	v_fma_f64 v[64:65], v[60:61], v[12:13], v[0:1]
	v_mul_f64 v[0:1], v[62:63], v[12:13]
	v_add_f64 v[12:13], v[4:5], v[18:19]
	v_fma_f64 v[60:61], v[60:61], v[14:15], -v[0:1]
	ds_read_b128 v[0:3], v6
	ds_read_b128 v[8:11], v6 offset:1008
	s_waitcnt lgkmcnt(1)
	v_fma_f64 v[14:15], v[12:13], -0.5, v[0:1]
	v_add_f64 v[12:13], v[16:17], v[20:21]
	v_add_f64 v[0:1], v[0:1], v[4:5]
	v_add_f64 v[4:5], v[4:5], -v[18:19]
	v_fma_f64 v[22:23], v[12:13], -0.5, v[2:3]
	v_add_f64 v[2:3], v[2:3], v[16:17]
	v_add_f64 v[16:17], v[16:17], -v[20:21]
	v_add_f64 v[0:1], v[0:1], v[18:19]
	v_fma_f64 v[18:19], v[4:5], s[0:1], v[22:23]
	v_add_f64 v[2:3], v[2:3], v[20:21]
	v_fma_f64 v[12:13], v[16:17], s[0:1], v[14:15]
	v_fma_f64 v[16:17], v[16:17], s[4:5], v[14:15]
	;; [unrolled: 1-line block ×3, first 2 shown]
	ds_read_b128 v[20:23], v6 offset:2016
	ds_read_b128 v[24:27], v6 offset:3024
	s_waitcnt lgkmcnt(0)
	s_barrier
	buffer_gl0_inv
	buffer_load_dword v4, off, s[28:31], 0 offset:232 ; 4-byte Folded Reload
	s_waitcnt vmcnt(0)
	ds_write_b128 v4, v[0:3]
	ds_write_b128 v4, v[12:15] offset:64
	ds_write_b128 v4, v[16:19] offset:128
	v_add_f64 v[0:1], v[28:29], v[32:33]
	v_add_f64 v[16:17], v[28:29], -v[32:33]
	v_fma_f64 v[4:5], v[0:1], -0.5, v[8:9]
	v_add_f64 v[0:1], v[30:31], v[34:35]
	v_add_f64 v[8:9], v[8:9], v[28:29]
	v_fma_f64 v[14:15], v[0:1], -0.5, v[10:11]
	v_add_f64 v[0:1], v[10:11], v[30:31]
	v_add_f64 v[10:11], v[30:31], -v[34:35]
	v_add_f64 v[2:3], v[0:1], v[34:35]
	v_add_f64 v[0:1], v[8:9], v[32:33]
	v_fma_f64 v[8:9], v[10:11], s[0:1], v[4:5]
	v_fma_f64 v[12:13], v[10:11], s[4:5], v[4:5]
	buffer_load_dword v4, off, s[28:31], 0 offset:236 ; 4-byte Folded Reload
	v_fma_f64 v[10:11], v[16:17], s[4:5], v[14:15]
	v_fma_f64 v[14:15], v[16:17], s[0:1], v[14:15]
	v_add_f64 v[16:17], v[48:49], -v[52:53]
	s_waitcnt vmcnt(0)
	ds_write_b128 v4, v[0:3]
	ds_write_b128 v4, v[8:11] offset:64
	ds_write_b128 v4, v[12:15] offset:128
	v_add_f64 v[0:1], v[48:49], v[52:53]
	v_add_f64 v[8:9], v[20:21], v[48:49]
	v_add_f64 v[10:11], v[50:51], -v[54:55]
	v_fma_f64 v[4:5], v[0:1], -0.5, v[20:21]
	v_add_f64 v[0:1], v[50:51], v[54:55]
	v_fma_f64 v[12:13], v[10:11], s[4:5], v[4:5]
	v_fma_f64 v[14:15], v[0:1], -0.5, v[22:23]
	v_add_f64 v[0:1], v[22:23], v[50:51]
	v_add_f64 v[2:3], v[0:1], v[54:55]
	;; [unrolled: 1-line block ×3, first 2 shown]
	v_fma_f64 v[8:9], v[10:11], s[0:1], v[4:5]
	buffer_load_dword v4, off, s[28:31], 0 offset:228 ; 4-byte Folded Reload
	v_fma_f64 v[10:11], v[16:17], s[4:5], v[14:15]
	v_fma_f64 v[14:15], v[16:17], s[0:1], v[14:15]
	v_add_f64 v[16:17], v[56:57], -v[64:65]
	s_waitcnt vmcnt(0)
	ds_write_b128 v4, v[0:3]
	ds_write_b128 v4, v[8:11] offset:64
	ds_write_b128 v4, v[12:15] offset:128
	v_add_f64 v[0:1], v[56:57], v[64:65]
	v_add_f64 v[8:9], v[24:25], v[56:57]
	v_add_f64 v[10:11], v[58:59], -v[60:61]
	v_fma_f64 v[4:5], v[0:1], -0.5, v[24:25]
	v_add_f64 v[0:1], v[58:59], v[60:61]
	v_fma_f64 v[12:13], v[10:11], s[4:5], v[4:5]
	v_fma_f64 v[14:15], v[0:1], -0.5, v[26:27]
	v_add_f64 v[0:1], v[26:27], v[58:59]
	v_add_f64 v[2:3], v[0:1], v[60:61]
	;; [unrolled: 1-line block ×3, first 2 shown]
	v_fma_f64 v[8:9], v[10:11], s[0:1], v[4:5]
	buffer_load_dword v4, off, s[28:31], 0 offset:240 ; 4-byte Folded Reload
	v_fma_f64 v[10:11], v[16:17], s[4:5], v[14:15]
	v_fma_f64 v[14:15], v[16:17], s[0:1], v[14:15]
	s_waitcnt vmcnt(0)
	ds_write_b128 v4, v[0:3]
	ds_write_b128 v4, v[8:11] offset:64
	ds_write_b128 v4, v[12:15] offset:128
	s_waitcnt lgkmcnt(0)
	s_barrier
	buffer_gl0_inv
	ds_read_b128 v[0:3], v6 offset:4032
	ds_read_b128 v[8:11], v6 offset:5040
	s_waitcnt lgkmcnt(1)
	v_mul_f64 v[4:5], v[154:155], v[2:3]
	v_fma_f64 v[4:5], v[152:153], v[0:1], v[4:5]
	v_mul_f64 v[0:1], v[154:155], v[0:1]
	v_fma_f64 v[16:17], v[152:153], v[2:3], -v[0:1]
	ds_read_b128 v[0:3], v6 offset:8064
	ds_read_b128 v[12:15], v6 offset:9072
	s_waitcnt lgkmcnt(1)
	v_mul_f64 v[18:19], v[146:147], v[2:3]
	v_fma_f64 v[18:19], v[144:145], v[0:1], v[18:19]
	v_mul_f64 v[0:1], v[146:147], v[0:1]
	v_fma_f64 v[20:21], v[144:145], v[2:3], -v[0:1]
	v_mul_f64 v[0:1], v[142:143], v[10:11]
	v_fma_f64 v[28:29], v[140:141], v[8:9], v[0:1]
	v_mul_f64 v[0:1], v[142:143], v[8:9]
	v_fma_f64 v[30:31], v[140:141], v[10:11], -v[0:1]
	s_waitcnt lgkmcnt(0)
	v_mul_f64 v[0:1], v[138:139], v[14:15]
	v_fma_f64 v[32:33], v[136:137], v[12:13], v[0:1]
	v_mul_f64 v[0:1], v[138:139], v[12:13]
	v_fma_f64 v[34:35], v[136:137], v[14:15], -v[0:1]
	ds_read_b128 v[0:3], v6 offset:6048
	ds_read_b128 v[8:11], v6 offset:7056
	s_waitcnt lgkmcnt(1)
	v_mul_f64 v[12:13], v[130:131], v[2:3]
	v_fma_f64 v[48:49], v[128:129], v[0:1], v[12:13]
	v_mul_f64 v[0:1], v[130:131], v[0:1]
	v_fma_f64 v[50:51], v[128:129], v[2:3], -v[0:1]
	ds_read_b128 v[0:3], v6 offset:10080
	ds_read_b128 v[12:15], v6 offset:11088
	s_waitcnt lgkmcnt(1)
	v_mul_f64 v[22:23], v[122:123], v[2:3]
	v_fma_f64 v[52:53], v[120:121], v[0:1], v[22:23]
	v_mul_f64 v[0:1], v[122:123], v[0:1]
	v_fma_f64 v[54:55], v[120:121], v[2:3], -v[0:1]
	v_mul_f64 v[0:1], v[126:127], v[10:11]
	v_fma_f64 v[56:57], v[124:125], v[8:9], v[0:1]
	v_mul_f64 v[0:1], v[126:127], v[8:9]
	v_fma_f64 v[58:59], v[124:125], v[10:11], -v[0:1]
	s_waitcnt lgkmcnt(0)
	v_mul_f64 v[0:1], v[118:119], v[14:15]
	v_fma_f64 v[60:61], v[116:117], v[12:13], v[0:1]
	v_mul_f64 v[0:1], v[118:119], v[12:13]
	v_add_f64 v[12:13], v[4:5], v[18:19]
	v_fma_f64 v[62:63], v[116:117], v[14:15], -v[0:1]
	ds_read_b128 v[0:3], v6
	ds_read_b128 v[8:11], v6 offset:1008
	s_waitcnt lgkmcnt(1)
	v_fma_f64 v[14:15], v[12:13], -0.5, v[0:1]
	v_add_f64 v[12:13], v[16:17], v[20:21]
	v_add_f64 v[0:1], v[0:1], v[4:5]
	v_add_f64 v[4:5], v[4:5], -v[18:19]
	v_fma_f64 v[22:23], v[12:13], -0.5, v[2:3]
	v_add_f64 v[2:3], v[2:3], v[16:17]
	v_add_f64 v[16:17], v[16:17], -v[20:21]
	v_add_f64 v[0:1], v[0:1], v[18:19]
	v_fma_f64 v[18:19], v[4:5], s[0:1], v[22:23]
	v_add_f64 v[2:3], v[2:3], v[20:21]
	v_fma_f64 v[12:13], v[16:17], s[0:1], v[14:15]
	v_fma_f64 v[16:17], v[16:17], s[4:5], v[14:15]
	;; [unrolled: 1-line block ×3, first 2 shown]
	ds_read_b128 v[20:23], v6 offset:2016
	ds_read_b128 v[24:27], v6 offset:3024
	s_waitcnt lgkmcnt(0)
	s_barrier
	buffer_gl0_inv
	ds_write_b128 v224, v[0:3]
	ds_write_b128 v224, v[12:15] offset:192
	ds_write_b128 v224, v[16:19] offset:384
	v_add_f64 v[0:1], v[28:29], v[32:33]
	v_add_f64 v[16:17], v[28:29], -v[32:33]
	v_fma_f64 v[4:5], v[0:1], -0.5, v[8:9]
	v_add_f64 v[0:1], v[30:31], v[34:35]
	v_add_f64 v[8:9], v[8:9], v[28:29]
	v_fma_f64 v[14:15], v[0:1], -0.5, v[10:11]
	v_add_f64 v[0:1], v[10:11], v[30:31]
	v_add_f64 v[10:11], v[30:31], -v[34:35]
	v_add_f64 v[30:31], v[48:49], -v[52:53]
	v_add_f64 v[2:3], v[0:1], v[34:35]
	v_add_f64 v[0:1], v[8:9], v[32:33]
	v_fma_f64 v[8:9], v[10:11], s[0:1], v[4:5]
	v_fma_f64 v[12:13], v[10:11], s[4:5], v[4:5]
	;; [unrolled: 1-line block ×4, first 2 shown]
	ds_write_b128 v255, v[0:3]
	ds_write_b128 v255, v[8:11] offset:192
	ds_write_b128 v255, v[12:15] offset:384
	buffer_load_dword v0, off, s[28:31], 0 offset:248 ; 4-byte Folded Reload
	v_add_f64 v[4:5], v[48:49], v[52:53]
	v_add_f64 v[16:17], v[50:51], v[54:55]
	v_add_f64 v[32:33], v[56:57], -v[60:61]
	v_fma_f64 v[4:5], v[4:5], -0.5, v[20:21]
	v_fma_f64 v[28:29], v[16:17], -0.5, v[22:23]
	v_add_f64 v[16:17], v[22:23], v[50:51]
	v_add_f64 v[20:21], v[20:21], v[48:49]
	v_add_f64 v[22:23], v[50:51], -v[54:55]
	v_fma_f64 v[50:51], v[30:31], s[0:1], v[28:29]
	v_add_f64 v[18:19], v[16:17], v[54:55]
	v_add_f64 v[16:17], v[20:21], v[52:53]
	v_fma_f64 v[20:21], v[22:23], s[0:1], v[4:5]
	v_fma_f64 v[48:49], v[22:23], s[4:5], v[4:5]
	;; [unrolled: 1-line block ×3, first 2 shown]
	v_add_f64 v[4:5], v[56:57], v[60:61]
	v_add_f64 v[28:29], v[58:59], v[62:63]
	v_add_f64 v[30:31], v[58:59], -v[62:63]
	s_waitcnt vmcnt(0)
	ds_write_b128 v0, v[16:19]
	ds_write_b128 v0, v[20:23] offset:192
	ds_write_b128 v0, v[48:51] offset:384
	buffer_load_dword v0, off, s[28:31], 0 offset:244 ; 4-byte Folded Reload
	v_fma_f64 v[4:5], v[4:5], -0.5, v[24:25]
	v_fma_f64 v[28:29], v[28:29], -0.5, v[26:27]
	v_add_f64 v[26:27], v[26:27], v[58:59]
	v_add_f64 v[24:25], v[24:25], v[56:57]
	v_fma_f64 v[52:53], v[30:31], s[0:1], v[4:5]
	v_fma_f64 v[54:55], v[32:33], s[4:5], v[28:29]
	v_add_f64 v[26:27], v[26:27], v[62:63]
	v_add_f64 v[24:25], v[24:25], v[60:61]
	v_fma_f64 v[56:57], v[30:31], s[4:5], v[4:5]
	v_fma_f64 v[58:59], v[32:33], s[0:1], v[28:29]
	s_waitcnt vmcnt(0)
	ds_write_b128 v0, v[24:27]
	ds_write_b128 v0, v[52:55] offset:192
	ds_write_b128 v0, v[56:59] offset:384
	s_waitcnt lgkmcnt(0)
	s_barrier
	buffer_gl0_inv
	ds_read_b128 v[0:3], v6 offset:4032
	ds_read_b128 v[8:11], v6 offset:8064
	;; [unrolled: 1-line block ×6, first 2 shown]
	s_waitcnt lgkmcnt(5)
	v_mul_f64 v[4:5], v[202:203], v[2:3]
	s_waitcnt lgkmcnt(4)
	v_mul_f64 v[30:31], v[198:199], v[10:11]
	v_mul_f64 v[28:29], v[202:203], v[0:1]
	;; [unrolled: 1-line block ×3, first 2 shown]
	s_waitcnt lgkmcnt(3)
	v_mul_f64 v[52:53], v[194:195], v[12:13]
	s_waitcnt lgkmcnt(2)
	v_mul_f64 v[54:55], v[182:183], v[18:19]
	v_mul_f64 v[34:35], v[194:195], v[14:15]
	s_waitcnt lgkmcnt(0)
	v_mul_f64 v[56:57], v[178:179], v[24:25]
	v_mul_f64 v[58:59], v[174:175], v[22:23]
	v_fma_f64 v[4:5], v[200:201], v[0:1], v[4:5]
	v_fma_f64 v[30:31], v[196:197], v[8:9], v[30:31]
	v_mul_f64 v[8:9], v[182:183], v[16:17]
	v_fma_f64 v[28:29], v[200:201], v[2:3], -v[28:29]
	ds_read_b128 v[0:3], v6 offset:7056
	ds_read_b128 v[48:51], v6 offset:11088
	v_fma_f64 v[32:33], v[196:197], v[10:11], -v[32:33]
	v_mul_f64 v[10:11], v[178:179], v[26:27]
	v_fma_f64 v[52:53], v[192:193], v[14:15], -v[52:53]
	v_fma_f64 v[54:55], v[180:181], v[16:17], v[54:55]
	v_fma_f64 v[34:35], v[192:193], v[12:13], v[34:35]
	v_mul_f64 v[12:13], v[174:175], v[20:21]
	v_fma_f64 v[26:27], v[176:177], v[26:27], -v[56:57]
	v_fma_f64 v[20:21], v[172:173], v[20:21], v[58:59]
	s_waitcnt lgkmcnt(1)
	v_mul_f64 v[60:61], v[150:151], v[2:3]
	v_mul_f64 v[62:63], v[150:151], v[0:1]
	v_fma_f64 v[66:67], v[180:181], v[18:19], -v[8:9]
	s_waitcnt lgkmcnt(0)
	v_mul_f64 v[16:17], v[134:135], v[48:49]
	v_mul_f64 v[64:65], v[134:135], v[50:51]
	v_fma_f64 v[24:25], v[176:177], v[24:25], v[10:11]
	v_fma_f64 v[22:23], v[172:173], v[22:23], -v[12:13]
	ds_read_b128 v[8:11], v6
	ds_read_b128 v[12:15], v6 offset:1008
	v_fma_f64 v[56:57], v[148:149], v[0:1], v[60:61]
	v_fma_f64 v[58:59], v[148:149], v[2:3], -v[62:63]
	v_add_f64 v[60:61], v[4:5], v[30:31]
	v_add_f64 v[62:63], v[28:29], v[32:33]
	v_fma_f64 v[50:51], v[132:133], v[50:51], -v[16:17]
	v_add_f64 v[68:69], v[52:53], v[66:67]
	ds_read_b128 v[0:3], v6 offset:2016
	ds_read_b128 v[16:19], v6 offset:3024
	v_add_f64 v[70:71], v[24:25], v[20:21]
	s_waitcnt lgkmcnt(3)
	v_add_f64 v[74:75], v[8:9], v[4:5]
	s_waitcnt lgkmcnt(2)
	v_add_f64 v[80:81], v[14:15], v[52:53]
	v_add_f64 v[4:5], v[4:5], -v[30:31]
	v_add_f64 v[72:73], v[26:27], v[22:23]
	v_add_f64 v[116:117], v[26:27], -v[22:23]
	s_waitcnt lgkmcnt(0)
	s_barrier
	buffer_gl0_inv
	v_fma_f64 v[48:49], v[132:133], v[48:49], v[64:65]
	v_add_f64 v[76:77], v[10:11], v[28:29]
	v_add_f64 v[28:29], v[28:29], -v[32:33]
	v_add_f64 v[64:65], v[34:35], v[54:55]
	v_add_f64 v[78:79], v[12:13], v[34:35]
	v_add_f64 v[118:119], v[24:25], -v[20:21]
	v_add_f64 v[90:91], v[52:53], -v[66:67]
	v_add_f64 v[34:35], v[34:35], -v[54:55]
	v_fma_f64 v[60:61], v[60:61], -0.5, v[8:9]
	v_fma_f64 v[62:63], v[62:63], -0.5, v[10:11]
	v_add_f64 v[8:9], v[58:59], v[50:51]
	v_fma_f64 v[86:87], v[68:69], -0.5, v[14:15]
	v_add_f64 v[14:15], v[2:3], v[26:27]
	;; [unrolled: 2-line block ×3, first 2 shown]
	v_add_f64 v[84:85], v[0:1], v[24:25]
	v_add_f64 v[0:1], v[74:75], v[30:31]
	v_fma_f64 v[72:73], v[72:73], -0.5, v[2:3]
	v_add_f64 v[68:69], v[16:17], v[56:57]
	v_add_f64 v[10:11], v[80:81], v[66:67]
	v_add_f64 v[120:121], v[58:59], -v[50:51]
	v_add_f64 v[82:83], v[56:57], v[48:49]
	v_add_f64 v[2:3], v[76:77], v[32:33]
	v_add_f64 v[122:123], v[56:57], -v[48:49]
	v_fma_f64 v[64:65], v[64:65], -0.5, v[12:13]
	v_fma_f64 v[124:125], v[8:9], -0.5, v[18:19]
	v_fma_f64 v[18:19], v[4:5], s[4:5], v[62:63]
	v_add_f64 v[14:15], v[14:15], v[22:23]
	v_fma_f64 v[22:23], v[4:5], s[0:1], v[62:63]
	buffer_load_dword v4, off, s[28:31], 0 offset:224 ; 4-byte Folded Reload
	v_add_f64 v[12:13], v[84:85], v[20:21]
	v_fma_f64 v[20:21], v[28:29], s[4:5], v[60:61]
	v_add_f64 v[8:9], v[78:79], v[54:55]
	v_fma_f64 v[26:27], v[34:35], s[4:5], v[86:87]
	v_add_f64 v[52:53], v[68:69], v[48:49]
	v_add_f64 v[54:55], v[70:71], v[50:51]
	v_fma_f64 v[70:71], v[34:35], s[0:1], v[86:87]
	v_fma_f64 v[82:83], v[82:83], -0.5, v[16:17]
	v_fma_f64 v[16:17], v[28:29], s[0:1], v[60:61]
	v_fma_f64 v[48:49], v[116:117], s[0:1], v[88:89]
	v_fma_f64 v[24:25], v[90:91], s[0:1], v[64:65]
	v_fma_f64 v[68:69], v[90:91], s[4:5], v[64:65]
	v_fma_f64 v[50:51], v[118:119], s[4:5], v[72:73]
	v_fma_f64 v[56:57], v[116:117], s[4:5], v[88:89]
	v_fma_f64 v[58:59], v[118:119], s[0:1], v[72:73]
	s_waitcnt vmcnt(0)
	ds_write_b128 v4, v[0:3]
	ds_write_b128 v4, v[16:19] offset:576
	ds_write_b128 v4, v[20:23] offset:1152
	buffer_load_dword v0, off, s[28:31], 0 offset:220 ; 4-byte Folded Reload
	v_fma_f64 v[60:61], v[120:121], s[0:1], v[82:83]
	v_fma_f64 v[62:63], v[122:123], s[4:5], v[124:125]
	;; [unrolled: 1-line block ×4, first 2 shown]
	s_waitcnt vmcnt(0)
	ds_write_b128 v0, v[8:11]
	ds_write_b128 v0, v[24:27] offset:576
	ds_write_b128 v0, v[68:71] offset:1152
	buffer_load_dword v0, off, s[28:31], 0 offset:216 ; 4-byte Folded Reload
	s_waitcnt vmcnt(0)
	ds_write_b128 v0, v[12:15]
	ds_write_b128 v0, v[48:51] offset:576
	ds_write_b128 v0, v[56:59] offset:1152
	buffer_load_dword v0, off, s[28:31], 0 offset:212 ; 4-byte Folded Reload
	s_waitcnt vmcnt(0)
	ds_write_b128 v0, v[52:55]
	ds_write_b128 v0, v[60:63] offset:576
	ds_write_b128 v0, v[64:67] offset:1152
	s_waitcnt lgkmcnt(0)
	s_barrier
	buffer_gl0_inv
	ds_read_b128 v[68:71], v6
	ds_read_b128 v[88:91], v6 offset:1728
	ds_read_b128 v[84:87], v6 offset:3456
	;; [unrolled: 1-line block ×6, first 2 shown]
	s_and_saveexec_b32 s0, vcc_lo
	s_cbranch_execz .LBB0_7
; %bb.6:
	ds_read_b128 v[48:51], v6 offset:1008
	ds_read_b128 v[56:59], v6 offset:2736
	;; [unrolled: 1-line block ×7, first 2 shown]
.LBB0_7:
	s_or_b32 exec_lo, exec_lo, s0
	s_waitcnt lgkmcnt(5)
	v_mul_f64 v[0:1], v[158:159], v[90:91]
	v_mul_f64 v[2:3], v[158:159], v[88:89]
	s_waitcnt lgkmcnt(4)
	v_mul_f64 v[4:5], v[162:163], v[86:87]
	v_mul_f64 v[8:9], v[162:163], v[84:85]
	;; [unrolled: 3-line block ×3, first 2 shown]
	v_mul_f64 v[14:15], v[186:187], v[82:83]
	v_mul_f64 v[16:17], v[186:187], v[80:81]
	;; [unrolled: 1-line block ×6, first 2 shown]
	s_mov_b32 s6, 0x37e14327
	s_mov_b32 s14, 0xe976ee23
	;; [unrolled: 1-line block ×10, first 2 shown]
	v_fma_f64 v[0:1], v[156:157], v[88:89], v[0:1]
	v_fma_f64 v[2:3], v[156:157], v[90:91], -v[2:3]
	v_fma_f64 v[4:5], v[160:161], v[84:85], v[4:5]
	v_fma_f64 v[8:9], v[160:161], v[86:87], -v[8:9]
	;; [unrolled: 2-line block ×6, first 2 shown]
	s_mov_b32 s13, 0xbff2aaaa
	s_mov_b32 s16, 0x5476071b
	;; [unrolled: 1-line block ×10, first 2 shown]
	v_add_f64 v[26:27], v[0:1], v[10:11]
	v_add_f64 v[28:29], v[2:3], v[12:13]
	;; [unrolled: 1-line block ×4, first 2 shown]
	v_add_f64 v[4:5], v[4:5], -v[14:15]
	v_add_f64 v[8:9], v[8:9], -v[16:17]
	v_add_f64 v[14:15], v[18:19], v[22:23]
	v_add_f64 v[16:17], v[20:21], v[24:25]
	v_add_f64 v[18:19], v[22:23], -v[18:19]
	v_add_f64 v[20:21], v[24:25], -v[20:21]
	;; [unrolled: 1-line block ×4, first 2 shown]
	v_add_f64 v[0:1], v[30:31], v[26:27]
	v_add_f64 v[2:3], v[32:33], v[28:29]
	v_add_f64 v[22:23], v[26:27], -v[14:15]
	v_add_f64 v[24:25], v[28:29], -v[16:17]
	;; [unrolled: 1-line block ×6, first 2 shown]
	v_add_f64 v[4:5], v[18:19], v[4:5]
	v_add_f64 v[8:9], v[20:21], v[8:9]
	v_add_f64 v[18:19], v[10:11], -v[18:19]
	v_add_f64 v[20:21], v[12:13], -v[20:21]
	;; [unrolled: 1-line block ×4, first 2 shown]
	v_add_f64 v[78:79], v[14:15], v[0:1]
	v_add_f64 v[80:81], v[16:17], v[2:3]
	v_add_f64 v[14:15], v[14:15], -v[30:31]
	v_add_f64 v[16:17], v[16:17], -v[32:33]
	v_mul_f64 v[22:23], v[22:23], s[6:7]
	v_mul_f64 v[24:25], v[24:25], s[6:7]
	;; [unrolled: 1-line block ×6, first 2 shown]
	v_add_f64 v[4:5], v[4:5], v[10:11]
	v_add_f64 v[8:9], v[8:9], v[12:13]
	;; [unrolled: 1-line block ×4, first 2 shown]
	v_mul_f64 v[30:31], v[14:15], s[4:5]
	v_mul_f64 v[32:33], v[16:17], s[4:5]
	v_fma_f64 v[10:11], v[14:15], s[4:5], v[22:23]
	v_fma_f64 v[12:13], v[16:17], s[4:5], v[24:25]
	;; [unrolled: 1-line block ×4, first 2 shown]
	v_fma_f64 v[68:69], v[76:77], s[0:1], -v[72:73]
	v_fma_f64 v[34:35], v[74:75], s[0:1], -v[34:35]
	;; [unrolled: 1-line block ×6, first 2 shown]
	v_fma_f64 v[70:71], v[78:79], s[12:13], v[0:1]
	v_fma_f64 v[72:73], v[80:81], s[12:13], v[2:3]
	v_fma_f64 v[26:27], v[26:27], s[16:17], -v[30:31]
	v_fma_f64 v[28:29], v[28:29], s[16:17], -v[32:33]
	v_fma_f64 v[30:31], v[4:5], s[24:25], v[14:15]
	v_fma_f64 v[32:33], v[8:9], s[24:25], v[16:17]
	;; [unrolled: 1-line block ×6, first 2 shown]
	v_add_f64 v[76:77], v[10:11], v[70:71]
	v_add_f64 v[78:79], v[12:13], v[72:73]
	;; [unrolled: 1-line block ×7, first 2 shown]
	v_add_f64 v[10:11], v[78:79], -v[30:31]
	v_add_f64 v[12:13], v[74:75], v[80:81]
	v_add_f64 v[14:15], v[82:83], -v[4:5]
	v_add_f64 v[16:17], v[20:21], -v[68:69]
	v_add_f64 v[18:19], v[34:35], v[22:23]
	v_add_f64 v[20:21], v[68:69], v[20:21]
	v_add_f64 v[22:23], v[22:23], -v[34:35]
	v_add_f64 v[24:25], v[80:81], -v[74:75]
	v_add_f64 v[26:27], v[4:5], v[82:83]
	v_add_f64 v[68:69], v[76:77], -v[32:33]
	v_add_f64 v[70:71], v[30:31], v[78:79]
	ds_write_b128 v6, v[0:3]
	ds_write_b128 v6, v[8:11] offset:1728
	ds_write_b128 v6, v[12:15] offset:3456
	;; [unrolled: 1-line block ×6, first 2 shown]
	s_and_saveexec_b32 s26, vcc_lo
	s_cbranch_execz .LBB0_9
; %bb.8:
	v_mul_f64 v[0:1], v[114:115], v[208:209]
	v_mul_f64 v[2:3], v[94:95], v[56:57]
	;; [unrolled: 1-line block ×12, first 2 shown]
	v_fma_f64 v[0:1], v[112:113], v[210:211], -v[0:1]
	v_fma_f64 v[2:3], v[92:93], v[58:59], -v[2:3]
	;; [unrolled: 1-line block ×4, first 2 shown]
	v_fma_f64 v[10:11], v[92:93], v[56:57], v[10:11]
	v_fma_f64 v[12:13], v[112:113], v[208:209], v[12:13]
	;; [unrolled: 1-line block ×6, first 2 shown]
	v_fma_f64 v[22:23], v[100:101], v[62:63], -v[22:23]
	v_fma_f64 v[24:25], v[104:105], v[66:67], -v[24:25]
	v_add_f64 v[26:27], v[2:3], v[0:1]
	v_add_f64 v[28:29], v[8:9], v[4:5]
	v_add_f64 v[4:5], v[8:9], -v[4:5]
	v_add_f64 v[30:31], v[10:11], v[12:13]
	v_add_f64 v[10:11], v[10:11], -v[12:13]
	;; [unrolled: 2-line block ×3, first 2 shown]
	v_add_f64 v[34:35], v[18:19], -v[20:21]
	v_add_f64 v[18:19], v[20:21], v[18:19]
	v_add_f64 v[16:17], v[22:23], v[24:25]
	v_add_f64 v[20:21], v[24:25], -v[22:23]
	v_add_f64 v[8:9], v[2:3], -v[0:1]
	v_add_f64 v[12:13], v[28:29], v[26:27]
	v_add_f64 v[0:1], v[32:33], v[30:31]
	v_add_f64 v[52:53], v[14:15], -v[10:11]
	v_add_f64 v[2:3], v[34:35], -v[14:15]
	;; [unrolled: 1-line block ×7, first 2 shown]
	v_add_f64 v[14:15], v[34:35], v[14:15]
	v_add_f64 v[4:5], v[20:21], v[4:5]
	v_add_f64 v[20:21], v[8:9], -v[20:21]
	v_add_f64 v[26:27], v[28:29], -v[26:27]
	v_add_f64 v[30:31], v[32:33], -v[30:31]
	v_add_f64 v[12:13], v[16:17], v[12:13]
	v_add_f64 v[16:17], v[16:17], -v[28:29]
	v_add_f64 v[58:59], v[18:19], v[0:1]
	v_add_f64 v[18:19], v[18:19], -v[32:33]
	v_mul_f64 v[34:35], v[2:3], s[14:15]
	v_mul_f64 v[24:25], v[24:25], s[6:7]
	;; [unrolled: 1-line block ×4, first 2 shown]
	v_add_f64 v[10:11], v[14:15], v[10:11]
	v_add_f64 v[4:5], v[4:5], v[8:9]
	;; [unrolled: 1-line block ×3, first 2 shown]
	v_mul_f64 v[28:29], v[16:17], s[4:5]
	v_mul_f64 v[50:51], v[54:55], s[14:15]
	;; [unrolled: 1-line block ×3, first 2 shown]
	v_add_f64 v[0:1], v[48:49], v[58:59]
	v_mul_f64 v[32:33], v[18:19], s[4:5]
	v_fma_f64 v[8:9], v[60:61], s[20:21], v[34:35]
	v_fma_f64 v[34:35], v[52:53], s[0:1], -v[34:35]
	v_fma_f64 v[14:15], v[16:17], s[4:5], v[22:23]
	v_fma_f64 v[16:17], v[18:19], s[4:5], v[24:25]
	v_fma_f64 v[22:23], v[26:27], s[18:19], -v[22:23]
	v_fma_f64 v[18:19], v[60:61], s[22:23], -v[62:63]
	;; [unrolled: 1-line block ×3, first 2 shown]
	v_fma_f64 v[12:13], v[12:13], s[12:13], v[2:3]
	v_fma_f64 v[26:27], v[26:27], s[16:17], -v[28:29]
	v_fma_f64 v[28:29], v[20:21], s[20:21], v[50:51]
	v_fma_f64 v[48:49], v[56:57], s[0:1], -v[50:51]
	;; [unrolled: 2-line block ×3, first 2 shown]
	v_fma_f64 v[30:31], v[30:31], s[16:17], -v[32:33]
	v_fma_f64 v[8:9], v[10:11], s[24:25], v[8:9]
	v_fma_f64 v[34:35], v[10:11], s[24:25], v[34:35]
	;; [unrolled: 1-line block ×3, first 2 shown]
	v_add_f64 v[52:53], v[14:15], v[12:13]
	v_add_f64 v[54:55], v[22:23], v[12:13]
	v_fma_f64 v[28:29], v[4:5], s[24:25], v[28:29]
	v_add_f64 v[12:13], v[26:27], v[12:13]
	v_add_f64 v[58:59], v[16:17], v[50:51]
	v_fma_f64 v[56:57], v[4:5], s[24:25], v[20:21]
	v_add_f64 v[60:61], v[24:25], v[50:51]
	v_fma_f64 v[4:5], v[4:5], s[24:25], v[48:49]
	v_add_f64 v[16:17], v[30:31], v[50:51]
	v_add_f64 v[50:51], v[52:53], -v[8:9]
	v_add_f64 v[26:27], v[54:55], -v[32:33]
	v_add_f64 v[14:15], v[32:33], v[54:55]
	v_add_f64 v[22:23], v[34:35], v[12:13]
	;; [unrolled: 1-line block ×3, first 2 shown]
	v_add_f64 v[18:19], v[12:13], -v[34:35]
	v_add_f64 v[24:25], v[56:57], v[60:61]
	v_add_f64 v[12:13], v[60:61], -v[56:57]
	v_add_f64 v[20:21], v[16:17], -v[4:5]
	v_add_f64 v[16:17], v[4:5], v[16:17]
	v_add_f64 v[10:11], v[8:9], v[52:53]
	v_add_f64 v[8:9], v[58:59], -v[28:29]
	ds_write_b128 v6, v[0:3] offset:1008
	ds_write_b128 v6, v[48:51] offset:2736
	;; [unrolled: 1-line block ×7, first 2 shown]
.LBB0_9:
	s_or_b32 exec_lo, exec_lo, s26
	s_waitcnt lgkmcnt(0)
	s_barrier
	buffer_gl0_inv
	ds_read_b128 v[0:3], v6
	ds_read_b128 v[8:11], v6 offset:6048
	s_clause 0x1
	buffer_load_dword v4, off, s[28:31], 0
	buffer_load_dword v5, off, s[28:31], 0 offset:4
	ds_read_b128 v[12:15], v6 offset:1008
	ds_read_b128 v[16:19], v6 offset:7056
	s_clause 0x3
	buffer_load_dword v49, off, s[28:31], 0 offset:24
	buffer_load_dword v50, off, s[28:31], 0 offset:28
	;; [unrolled: 1-line block ×4, first 2 shown]
	ds_read_b128 v[20:23], v6 offset:2016
	ds_read_b128 v[24:27], v6 offset:3024
	s_clause 0x3
	buffer_load_dword v72, off, s[28:31], 0 offset:8
	buffer_load_dword v73, off, s[28:31], 0 offset:12
	buffer_load_dword v74, off, s[28:31], 0 offset:16
	buffer_load_dword v75, off, s[28:31], 0 offset:20
	v_mad_u64_u32 v[28:29], null, s8, v7, 0
	s_mov_b32 s0, 0x6b015ac0
	s_mov_b32 s1, 0x3f55ac05
	s_mul_i32 s6, s9, 0x17a0
	s_mul_hi_u32 s7, s8, 0x17a0
	s_mul_i32 s4, s8, 0x17a0
	s_add_i32 s7, s7, s6
	s_mul_hi_u32 s12, s8, 0xffffec50
	s_mul_i32 s5, s8, 0xffffec50
	s_sub_i32 s8, s12, s8
	s_waitcnt lgkmcnt(4)
	v_mul_f64 v[34:35], v[46:47], v[10:11]
	v_mul_f64 v[46:47], v[46:47], v[8:9]
	s_waitcnt lgkmcnt(2)
	v_mul_f64 v[64:65], v[42:43], v[18:19]
	v_mul_f64 v[66:67], v[42:43], v[16:17]
	v_fma_f64 v[34:35], v[44:45], v[8:9], v[34:35]
	v_fma_f64 v[68:69], v[44:45], v[10:11], -v[46:47]
	s_waitcnt vmcnt(9)
	v_mov_b32_e32 v48, v4
	s_waitcnt vmcnt(4)
	v_mul_f64 v[30:31], v[51:52], v[2:3]
	v_mul_f64 v[32:33], v[51:52], v[0:1]
	s_waitcnt vmcnt(0)
	v_mul_f64 v[62:63], v[74:75], v[12:13]
	v_mad_u64_u32 v[4:5], null, s10, v48, 0
	s_mul_i32 s10, s9, 0xffffec50
	s_add_i32 s8, s8, s10
	v_mad_u64_u32 v[58:59], null, s11, v48, v[5:6]
	v_mov_b32_e32 v5, v58
	v_mad_u64_u32 v[59:60], null, s9, v7, v[29:30]
	v_mul_f64 v[60:61], v[74:75], v[14:15]
	v_fma_f64 v[30:31], v[49:50], v[0:1], v[30:31]
	v_fma_f64 v[32:33], v[49:50], v[2:3], -v[32:33]
	ds_read_b128 v[0:3], v6 offset:8064
	ds_read_b128 v[7:10], v6 offset:9072
	;; [unrolled: 1-line block ×6, first 2 shown]
	s_clause 0x3
	buffer_load_dword v74, off, s[28:31], 0 offset:40
	buffer_load_dword v75, off, s[28:31], 0 offset:44
	;; [unrolled: 1-line block ×4, first 2 shown]
	v_lshlrev_b64 v[4:5], 4, v[4:5]
	v_mov_b32_e32 v29, v59
	v_add_co_u32 v6, vcc_lo, s2, v4
	v_lshlrev_b64 v[28:29], 4, v[28:29]
	v_fma_f64 v[58:59], v[72:73], v[12:13], v[60:61]
	v_fma_f64 v[60:61], v[72:73], v[14:15], -v[62:63]
	v_mul_f64 v[11:12], v[30:31], s[0:1]
	v_mul_f64 v[13:14], v[32:33], s[0:1]
	v_fma_f64 v[62:63], v[40:41], v[16:17], v[64:65]
	v_fma_f64 v[40:41], v[40:41], v[18:19], -v[66:67]
	v_mul_f64 v[15:16], v[34:35], s[0:1]
	v_mul_f64 v[17:18], v[68:69], s[0:1]
	v_add_co_ci_u32_e32 v19, vcc_lo, s3, v5, vcc_lo
	v_add_co_u32 v28, vcc_lo, v6, v28
	v_add_co_ci_u32_e32 v29, vcc_lo, v19, v29, vcc_lo
	v_add_co_u32 v32, vcc_lo, v28, s4
	;; [unrolled: 2-line block ×3, first 2 shown]
	v_mul_f64 v[58:59], v[58:59], s[0:1]
	v_add_co_ci_u32_e32 v67, vcc_lo, s8, v33, vcc_lo
	v_mul_f64 v[60:61], v[60:61], s[0:1]
	v_mul_f64 v[62:63], v[62:63], s[0:1]
	v_mul_f64 v[64:65], v[40:41], s[0:1]
	s_waitcnt vmcnt(0) lgkmcnt(7)
	v_mul_f64 v[70:71], v[76:77], v[22:23]
	v_mul_f64 v[4:5], v[76:77], v[20:21]
	s_clause 0x3
	buffer_load_dword v76, off, s[28:31], 0 offset:120
	buffer_load_dword v77, off, s[28:31], 0 offset:124
	;; [unrolled: 1-line block ×4, first 2 shown]
	global_store_dwordx4 v[28:29], v[11:14], off
	global_store_dwordx4 v[32:33], v[15:18], off
	s_clause 0x3
	buffer_load_dword v82, off, s[28:31], 0 offset:88
	buffer_load_dword v83, off, s[28:31], 0 offset:92
	;; [unrolled: 1-line block ×4, first 2 shown]
	v_add_co_u32 v17, vcc_lo, v66, s4
	v_add_co_ci_u32_e32 v18, vcc_lo, s7, v67, vcc_lo
	v_fma_f64 v[11:12], v[74:75], v[20:21], v[70:71]
	v_fma_f64 v[4:5], v[74:75], v[22:23], -v[4:5]
	s_waitcnt lgkmcnt(0)
	v_mul_f64 v[74:75], v[38:39], v[56:57]
	v_mul_f64 v[38:39], v[38:39], v[54:55]
	s_waitcnt vmcnt(4)
	v_mul_f64 v[30:31], v[78:79], v[2:3]
	v_mul_f64 v[34:35], v[78:79], v[0:1]
	s_waitcnt vmcnt(0)
	v_mul_f64 v[13:14], v[84:85], v[26:27]
	v_mul_f64 v[15:16], v[84:85], v[24:25]
	s_clause 0x3
	buffer_load_dword v84, off, s[28:31], 0 offset:104
	buffer_load_dword v85, off, s[28:31], 0 offset:108
	;; [unrolled: 1-line block ×4, first 2 shown]
	v_fma_f64 v[28:29], v[76:77], v[0:1], v[30:31]
	v_fma_f64 v[30:31], v[76:77], v[2:3], -v[34:35]
	s_clause 0x3
	buffer_load_dword v76, off, s[28:31], 0 offset:56
	buffer_load_dword v77, off, s[28:31], 0 offset:60
	;; [unrolled: 1-line block ×4, first 2 shown]
	v_mul_f64 v[0:1], v[11:12], s[0:1]
	v_fma_f64 v[11:12], v[82:83], v[24:25], v[13:14]
	v_fma_f64 v[13:14], v[82:83], v[26:27], -v[15:16]
	v_mul_f64 v[2:3], v[4:5], s[0:1]
	v_mul_f64 v[4:5], v[28:29], s[0:1]
	s_waitcnt vmcnt(4)
	v_mul_f64 v[19:20], v[86:87], v[9:10]
	v_mul_f64 v[21:22], v[86:87], v[7:8]
	s_waitcnt vmcnt(0)
	v_mul_f64 v[32:33], v[78:79], v[44:45]
	v_mul_f64 v[34:35], v[78:79], v[42:43]
	s_clause 0x7
	buffer_load_dword v78, off, s[28:31], 0 offset:72
	buffer_load_dword v79, off, s[28:31], 0 offset:76
	;; [unrolled: 1-line block ×8, first 2 shown]
	global_store_dwordx4 v[66:67], v[58:61], off
	global_store_dwordx4 v[17:18], v[62:65], off
	v_add_co_u32 v58, vcc_lo, v17, s5
	v_add_co_ci_u32_e32 v59, vcc_lo, s8, v18, vcc_lo
	v_fma_f64 v[15:16], v[84:85], v[7:8], v[19:20]
	v_fma_f64 v[17:18], v[84:85], v[9:10], -v[21:22]
	v_mul_f64 v[6:7], v[30:31], s[0:1]
	v_mul_f64 v[8:9], v[11:12], s[0:1]
	v_mul_f64 v[10:11], v[13:14], s[0:1]
	global_store_dwordx4 v[58:59], v[0:3], off
	v_fma_f64 v[19:20], v[76:77], v[42:43], v[32:33]
	v_fma_f64 v[21:22], v[76:77], v[44:45], -v[34:35]
	v_fma_f64 v[31:32], v[36:37], v[54:55], v[74:75]
	v_fma_f64 v[33:34], v[36:37], v[56:57], -v[38:39]
	v_add_co_u32 v35, vcc_lo, v58, s4
	v_add_co_ci_u32_e32 v36, vcc_lo, s7, v59, vcc_lo
	v_add_co_u32 v37, vcc_lo, v35, s5
	v_add_co_ci_u32_e32 v38, vcc_lo, s8, v36, vcc_lo
	v_mul_f64 v[12:13], v[15:16], s[0:1]
	v_add_co_u32 v39, vcc_lo, v37, s4
	v_mul_f64 v[14:15], v[17:18], s[0:1]
	global_store_dwordx4 v[35:36], v[4:7], off
	global_store_dwordx4 v[37:38], v[8:11], off
	v_mul_f64 v[16:17], v[19:20], s[0:1]
	v_mul_f64 v[18:19], v[21:22], s[0:1]
	s_waitcnt vmcnt(4)
	v_mul_f64 v[40:41], v[80:81], v[52:53]
	v_mul_f64 v[68:69], v[80:81], v[50:51]
	s_waitcnt vmcnt(0)
	v_mul_f64 v[70:71], v[88:89], v[48:49]
	v_mul_f64 v[72:73], v[88:89], v[46:47]
	v_fma_f64 v[23:24], v[78:79], v[50:51], v[40:41]
	v_fma_f64 v[25:26], v[78:79], v[52:53], -v[68:69]
	v_fma_f64 v[27:28], v[86:87], v[46:47], v[70:71]
	v_fma_f64 v[29:30], v[86:87], v[48:49], -v[72:73]
	v_add_co_ci_u32_e32 v40, vcc_lo, s7, v38, vcc_lo
	v_mul_f64 v[20:21], v[23:24], s[0:1]
	v_mul_f64 v[22:23], v[25:26], s[0:1]
	;; [unrolled: 1-line block ×6, first 2 shown]
	v_add_co_u32 v32, vcc_lo, v39, s5
	v_add_co_ci_u32_e32 v33, vcc_lo, s8, v40, vcc_lo
	v_add_co_u32 v0, vcc_lo, v32, s4
	v_add_co_ci_u32_e32 v1, vcc_lo, s7, v33, vcc_lo
	;; [unrolled: 2-line block ×4, first 2 shown]
	global_store_dwordx4 v[39:40], v[12:15], off
	global_store_dwordx4 v[32:33], v[16:19], off
	;; [unrolled: 1-line block ×5, first 2 shown]
.LBB0_10:
	s_endpgm
	.section	.rodata,"a",@progbits
	.p2align	6, 0x0
	.amdhsa_kernel bluestein_single_fwd_len756_dim1_dp_op_CI_CI
		.amdhsa_group_segment_fixed_size 12096
		.amdhsa_private_segment_fixed_size 256
		.amdhsa_kernarg_size 104
		.amdhsa_user_sgpr_count 6
		.amdhsa_user_sgpr_private_segment_buffer 1
		.amdhsa_user_sgpr_dispatch_ptr 0
		.amdhsa_user_sgpr_queue_ptr 0
		.amdhsa_user_sgpr_kernarg_segment_ptr 1
		.amdhsa_user_sgpr_dispatch_id 0
		.amdhsa_user_sgpr_flat_scratch_init 0
		.amdhsa_user_sgpr_private_segment_size 0
		.amdhsa_wavefront_size32 1
		.amdhsa_uses_dynamic_stack 0
		.amdhsa_system_sgpr_private_segment_wavefront_offset 1
		.amdhsa_system_sgpr_workgroup_id_x 1
		.amdhsa_system_sgpr_workgroup_id_y 0
		.amdhsa_system_sgpr_workgroup_id_z 0
		.amdhsa_system_sgpr_workgroup_info 0
		.amdhsa_system_vgpr_workitem_id 0
		.amdhsa_next_free_vgpr 256
		.amdhsa_next_free_sgpr 32
		.amdhsa_reserve_vcc 1
		.amdhsa_reserve_flat_scratch 0
		.amdhsa_float_round_mode_32 0
		.amdhsa_float_round_mode_16_64 0
		.amdhsa_float_denorm_mode_32 3
		.amdhsa_float_denorm_mode_16_64 3
		.amdhsa_dx10_clamp 1
		.amdhsa_ieee_mode 1
		.amdhsa_fp16_overflow 0
		.amdhsa_workgroup_processor_mode 1
		.amdhsa_memory_ordered 1
		.amdhsa_forward_progress 0
		.amdhsa_shared_vgpr_count 0
		.amdhsa_exception_fp_ieee_invalid_op 0
		.amdhsa_exception_fp_denorm_src 0
		.amdhsa_exception_fp_ieee_div_zero 0
		.amdhsa_exception_fp_ieee_overflow 0
		.amdhsa_exception_fp_ieee_underflow 0
		.amdhsa_exception_fp_ieee_inexact 0
		.amdhsa_exception_int_div_zero 0
	.end_amdhsa_kernel
	.text
.Lfunc_end0:
	.size	bluestein_single_fwd_len756_dim1_dp_op_CI_CI, .Lfunc_end0-bluestein_single_fwd_len756_dim1_dp_op_CI_CI
                                        ; -- End function
	.section	.AMDGPU.csdata,"",@progbits
; Kernel info:
; codeLenInByte = 17948
; NumSgprs: 34
; NumVgprs: 256
; ScratchSize: 256
; MemoryBound: 0
; FloatMode: 240
; IeeeMode: 1
; LDSByteSize: 12096 bytes/workgroup (compile time only)
; SGPRBlocks: 4
; VGPRBlocks: 31
; NumSGPRsForWavesPerEU: 34
; NumVGPRsForWavesPerEU: 256
; Occupancy: 4
; WaveLimiterHint : 1
; COMPUTE_PGM_RSRC2:SCRATCH_EN: 1
; COMPUTE_PGM_RSRC2:USER_SGPR: 6
; COMPUTE_PGM_RSRC2:TRAP_HANDLER: 0
; COMPUTE_PGM_RSRC2:TGID_X_EN: 1
; COMPUTE_PGM_RSRC2:TGID_Y_EN: 0
; COMPUTE_PGM_RSRC2:TGID_Z_EN: 0
; COMPUTE_PGM_RSRC2:TIDIG_COMP_CNT: 0
	.text
	.p2alignl 6, 3214868480
	.fill 48, 4, 3214868480
	.type	__hip_cuid_a5578f0180c6a203,@object ; @__hip_cuid_a5578f0180c6a203
	.section	.bss,"aw",@nobits
	.globl	__hip_cuid_a5578f0180c6a203
__hip_cuid_a5578f0180c6a203:
	.byte	0                               ; 0x0
	.size	__hip_cuid_a5578f0180c6a203, 1

	.ident	"AMD clang version 19.0.0git (https://github.com/RadeonOpenCompute/llvm-project roc-6.4.0 25133 c7fe45cf4b819c5991fe208aaa96edf142730f1d)"
	.section	".note.GNU-stack","",@progbits
	.addrsig
	.addrsig_sym __hip_cuid_a5578f0180c6a203
	.amdgpu_metadata
---
amdhsa.kernels:
  - .args:
      - .actual_access:  read_only
        .address_space:  global
        .offset:         0
        .size:           8
        .value_kind:     global_buffer
      - .actual_access:  read_only
        .address_space:  global
        .offset:         8
        .size:           8
        .value_kind:     global_buffer
      - .actual_access:  read_only
        .address_space:  global
        .offset:         16
        .size:           8
        .value_kind:     global_buffer
      - .actual_access:  read_only
        .address_space:  global
        .offset:         24
        .size:           8
        .value_kind:     global_buffer
      - .actual_access:  read_only
        .address_space:  global
        .offset:         32
        .size:           8
        .value_kind:     global_buffer
      - .offset:         40
        .size:           8
        .value_kind:     by_value
      - .address_space:  global
        .offset:         48
        .size:           8
        .value_kind:     global_buffer
      - .address_space:  global
        .offset:         56
        .size:           8
        .value_kind:     global_buffer
      - .address_space:  global
        .offset:         64
        .size:           8
        .value_kind:     global_buffer
      - .address_space:  global
        .offset:         72
        .size:           8
        .value_kind:     global_buffer
      - .offset:         80
        .size:           4
        .value_kind:     by_value
      - .address_space:  global
        .offset:         88
        .size:           8
        .value_kind:     global_buffer
      - .address_space:  global
        .offset:         96
        .size:           8
        .value_kind:     global_buffer
    .group_segment_fixed_size: 12096
    .kernarg_segment_align: 8
    .kernarg_segment_size: 104
    .language:       OpenCL C
    .language_version:
      - 2
      - 0
    .max_flat_workgroup_size: 63
    .name:           bluestein_single_fwd_len756_dim1_dp_op_CI_CI
    .private_segment_fixed_size: 256
    .sgpr_count:     34
    .sgpr_spill_count: 0
    .symbol:         bluestein_single_fwd_len756_dim1_dp_op_CI_CI.kd
    .uniform_work_group_size: 1
    .uses_dynamic_stack: false
    .vgpr_count:     256
    .vgpr_spill_count: 63
    .wavefront_size: 32
    .workgroup_processor_mode: 1
amdhsa.target:   amdgcn-amd-amdhsa--gfx1030
amdhsa.version:
  - 1
  - 2
...

	.end_amdgpu_metadata
